;; amdgpu-corpus repo=ROCm/rocFFT kind=compiled arch=gfx906 opt=O3
	.text
	.amdgcn_target "amdgcn-amd-amdhsa--gfx906"
	.amdhsa_code_object_version 6
	.protected	bluestein_single_fwd_len672_dim1_half_op_CI_CI ; -- Begin function bluestein_single_fwd_len672_dim1_half_op_CI_CI
	.globl	bluestein_single_fwd_len672_dim1_half_op_CI_CI
	.p2align	8
	.type	bluestein_single_fwd_len672_dim1_half_op_CI_CI,@function
bluestein_single_fwd_len672_dim1_half_op_CI_CI: ; @bluestein_single_fwd_len672_dim1_half_op_CI_CI
; %bb.0:
	s_load_dwordx4 s[16:19], s[4:5], 0x28
	v_mul_u32_u24_e32 v1, 0x493, v0
	v_add_u32_sdwa v8, s6, v1 dst_sel:DWORD dst_unused:UNUSED_PAD src0_sel:DWORD src1_sel:WORD_1
	v_mov_b32_e32 v9, 0
	s_waitcnt lgkmcnt(0)
	v_cmp_gt_u64_e32 vcc, s[16:17], v[8:9]
	s_and_saveexec_b64 s[0:1], vcc
	s_cbranch_execz .LBB0_10
; %bb.1:
	s_load_dwordx4 s[0:3], s[4:5], 0x18
	s_load_dwordx4 s[12:15], s[4:5], 0x0
	v_mov_b32_e32 v2, 56
	v_mul_lo_u16_sdwa v1, v1, v2 dst_sel:DWORD dst_unused:UNUSED_PAD src0_sel:WORD_1 src1_sel:DWORD
	v_sub_u16_e32 v41, v0, v1
	s_waitcnt lgkmcnt(0)
	s_load_dwordx4 s[8:11], s[0:1], 0x0
	v_lshlrev_b32_e32 v30, 2, v41
	v_or_b32_e32 v36, 0x1c0, v41
	v_add_u32_e32 v61, 0x400, v30
	v_add_u32_e32 v64, 0x200, v30
	s_waitcnt lgkmcnt(0)
	v_mad_u64_u32 v[0:1], s[0:1], s10, v8, 0
	v_mad_u64_u32 v[2:3], s[0:1], s8, v41, 0
	s_mul_i32 s7, s8, 0x540
	v_lshlrev_b32_e32 v45, 3, v41
	v_mad_u64_u32 v[4:5], s[0:1], s11, v8, v[1:2]
	s_mul_i32 s11, s8, 0xfffffba0
	v_and_b32_e32 v24, 3, v41
	v_mad_u64_u32 v[5:6], s[0:1], s9, v41, v[3:4]
	v_mov_b32_e32 v1, v4
	v_lshlrev_b64 v[0:1], 2, v[0:1]
	v_mov_b32_e32 v6, s19
	v_mov_b32_e32 v3, v5
	v_add_co_u32_e32 v9, vcc, s18, v0
	v_addc_co_u32_e32 v10, vcc, v6, v1, vcc
	v_lshlrev_b64 v[0:1], 2, v[2:3]
	s_mul_i32 s0, s9, 0x540
	v_add_co_u32_e32 v0, vcc, v9, v0
	s_mul_hi_u32 s1, s8, 0x540
	v_addc_co_u32_e32 v1, vcc, v10, v1, vcc
	s_add_i32 s6, s1, s0
	s_mul_hi_u32 s1, s8, 0xfffffba0
	v_mov_b32_e32 v3, s6
	v_add_co_u32_e32 v2, vcc, s7, v0
	s_mul_i32 s0, s9, 0xfffffba0
	s_sub_i32 s1, s1, s8
	v_addc_co_u32_e32 v3, vcc, v1, v3, vcc
	s_add_i32 s10, s1, s0
	v_mov_b32_e32 v5, s10
	v_add_co_u32_e32 v4, vcc, s11, v2
	v_addc_co_u32_e32 v5, vcc, v3, v5, vcc
	global_load_dword v11, v[0:1], off
	global_load_dword v12, v[2:3], off
	;; [unrolled: 1-line block ×3, first 2 shown]
	global_load_dword v43, v30, s[12:13]
	global_load_dword v40, v30, s[12:13] offset:224
	global_load_dword v42, v30, s[12:13] offset:1344
	;; [unrolled: 1-line block ×3, first 2 shown]
	v_mad_u64_u32 v[2:3], s[0:1], s8, v36, 0
	v_mov_b32_e32 v1, s6
	v_add_co_u32_e32 v0, vcc, s7, v4
	v_addc_co_u32_e32 v1, vcc, v5, v1, vcc
	v_add_co_u32_e32 v4, vcc, s11, v0
	v_mad_u64_u32 v[6:7], s[0:1], s9, v36, v[3:4]
	v_mov_b32_e32 v5, s10
	v_addc_co_u32_e32 v5, vcc, v1, v5, vcc
	global_load_dword v7, v[0:1], off
	global_load_dword v14, v[4:5], off
	global_load_dword v38, v30, s[12:13] offset:448
	v_mov_b32_e32 v3, v6
	v_lshlrev_b64 v[0:1], 2, v[2:3]
	v_mov_b32_e32 v6, s6
	v_add_co_u32_e32 v0, vcc, v9, v0
	v_addc_co_u32_e32 v1, vcc, v10, v1, vcc
	global_load_dword v2, v[0:1], off
	global_load_dword v37, v30, s[12:13] offset:1792
	v_mov_b32_e32 v0, 0xe0
	v_mad_u64_u32 v[0:1], s[0:1], s8, v0, v[4:5]
	s_mul_i32 s0, s9, 0xe0
	v_mov_b32_e32 v4, s6
	v_add_u32_e32 v1, s0, v1
	global_load_dword v3, v[0:1], off
	global_load_dword v35, v30, s[12:13] offset:672
	v_add_co_u32_e32 v0, vcc, s7, v0
	v_addc_co_u32_e32 v1, vcc, v1, v4, vcc
	global_load_dword v4, v[0:1], off
	global_load_dword v34, v30, s[12:13] offset:2016
	v_mov_b32_e32 v5, s10
	v_add_co_u32_e32 v0, vcc, s11, v0
	v_addc_co_u32_e32 v1, vcc, v1, v5, vcc
	global_load_dword v5, v[0:1], off
	global_load_dword v33, v30, s[12:13] offset:896
	v_add_co_u32_e32 v0, vcc, s7, v0
	v_addc_co_u32_e32 v1, vcc, v1, v6, vcc
	global_load_dword v6, v[0:1], off
	global_load_dword v32, v30, s[12:13] offset:2240
	v_mov_b32_e32 v9, s10
	v_add_co_u32_e32 v0, vcc, s11, v0
	v_addc_co_u32_e32 v1, vcc, v1, v9, vcc
	global_load_dword v9, v[0:1], off
	global_load_dword v31, v30, s[12:13] offset:1120
	v_mov_b32_e32 v10, s6
	v_add_co_u32_e32 v0, vcc, s7, v0
	v_addc_co_u32_e32 v1, vcc, v1, v10, vcc
	global_load_dword v10, v[0:1], off
	global_load_dword v29, v30, s[12:13] offset:2464
	s_load_dwordx4 s[8:11], s[2:3], 0x0
	v_add_co_u32_e32 v81, vcc, 56, v41
	v_lshlrev_b32_e32 v46, 3, v81
	s_movk_i32 s0, 0x7c
	v_and_b32_e32 v83, 31, v81
	s_mov_b32 s1, 0xbaee
	s_load_dwordx2 s[2:3], s[4:5], 0x38
	s_waitcnt vmcnt(23)
	v_lshrrev_b32_e32 v0, 16, v11
	s_waitcnt vmcnt(20)
	v_mul_f16_sdwa v1, v43, v0 dst_sel:DWORD dst_unused:UNUSED_PAD src0_sel:WORD_1 src1_sel:DWORD
	v_fma_f16 v1, v43, v11, v1
	v_mul_f16_sdwa v11, v43, v11 dst_sel:DWORD dst_unused:UNUSED_PAD src0_sel:WORD_1 src1_sel:DWORD
	v_fma_f16 v0, v43, v0, -v11
	v_pack_b32_f16 v0, v1, v0
	v_lshrrev_b32_e32 v1, 16, v12
	s_waitcnt vmcnt(18)
	v_mul_f16_sdwa v11, v42, v1 dst_sel:DWORD dst_unused:UNUSED_PAD src0_sel:WORD_1 src1_sel:DWORD
	v_fma_f16 v11, v42, v12, v11
	v_mul_f16_sdwa v12, v42, v12 dst_sel:DWORD dst_unused:UNUSED_PAD src0_sel:WORD_1 src1_sel:DWORD
	v_fma_f16 v1, v42, v1, -v12
	v_pack_b32_f16 v1, v11, v1
	ds_write_b32 v30, v1 offset:1344
	v_lshrrev_b32_e32 v1, 16, v13
	v_mul_f16_sdwa v11, v40, v1 dst_sel:DWORD dst_unused:UNUSED_PAD src0_sel:WORD_1 src1_sel:DWORD
	v_mul_f16_sdwa v12, v40, v13 dst_sel:DWORD dst_unused:UNUSED_PAD src0_sel:WORD_1 src1_sel:DWORD
	v_fma_f16 v11, v40, v13, v11
	v_fma_f16 v1, v40, v1, -v12
	v_pack_b32_f16 v1, v11, v1
	ds_write2_b32 v30, v0, v1 offset1:56
	s_waitcnt vmcnt(16)
	v_lshrrev_b32_e32 v0, 16, v7
	v_mul_f16_sdwa v1, v39, v0 dst_sel:DWORD dst_unused:UNUSED_PAD src0_sel:WORD_1 src1_sel:DWORD
	v_fma_f16 v1, v39, v7, v1
	v_mul_f16_sdwa v7, v39, v7 dst_sel:DWORD dst_unused:UNUSED_PAD src0_sel:WORD_1 src1_sel:DWORD
	v_fma_f16 v0, v39, v0, -v7
	v_pack_b32_f16 v0, v1, v0
	s_waitcnt vmcnt(15)
	v_lshrrev_b32_e32 v1, 16, v14
	s_waitcnt vmcnt(14)
	v_mul_f16_sdwa v7, v38, v1 dst_sel:DWORD dst_unused:UNUSED_PAD src0_sel:WORD_1 src1_sel:DWORD
	v_mul_f16_sdwa v11, v38, v14 dst_sel:DWORD dst_unused:UNUSED_PAD src0_sel:WORD_1 src1_sel:DWORD
	v_fma_f16 v7, v38, v14, v7
	v_fma_f16 v1, v38, v1, -v11
	v_pack_b32_f16 v1, v7, v1
	s_waitcnt vmcnt(13)
	v_lshrrev_b32_e32 v7, 16, v2
	s_waitcnt vmcnt(12)
	v_mul_f16_sdwa v11, v37, v7 dst_sel:DWORD dst_unused:UNUSED_PAD src0_sel:WORD_1 src1_sel:DWORD
	v_fma_f16 v11, v37, v2, v11
	v_mul_f16_sdwa v2, v37, v2 dst_sel:DWORD dst_unused:UNUSED_PAD src0_sel:WORD_1 src1_sel:DWORD
	v_fma_f16 v2, v37, v7, -v2
	v_pack_b32_f16 v2, v11, v2
	ds_write2_b32 v61, v0, v2 offset0:136 offset1:192
	s_waitcnt vmcnt(11)
	v_lshrrev_b32_e32 v0, 16, v3
	s_waitcnt vmcnt(10)
	v_mul_f16_sdwa v2, v35, v0 dst_sel:DWORD dst_unused:UNUSED_PAD src0_sel:WORD_1 src1_sel:DWORD
	v_fma_f16 v2, v35, v3, v2
	v_mul_f16_sdwa v3, v35, v3 dst_sel:DWORD dst_unused:UNUSED_PAD src0_sel:WORD_1 src1_sel:DWORD
	v_fma_f16 v0, v35, v0, -v3
	v_pack_b32_f16 v0, v2, v0
	ds_write2_b32 v30, v1, v0 offset0:112 offset1:168
	s_waitcnt vmcnt(9)
	v_lshrrev_b32_e32 v0, 16, v4
	s_waitcnt vmcnt(8)
	v_mul_f16_sdwa v1, v34, v0 dst_sel:DWORD dst_unused:UNUSED_PAD src0_sel:WORD_1 src1_sel:DWORD
	v_mul_f16_sdwa v2, v34, v4 dst_sel:DWORD dst_unused:UNUSED_PAD src0_sel:WORD_1 src1_sel:DWORD
	v_fma_f16 v1, v34, v4, v1
	v_fma_f16 v0, v34, v0, -v2
	v_pack_b32_f16 v0, v1, v0
	s_waitcnt vmcnt(7)
	v_lshrrev_b32_e32 v1, 16, v5
	s_waitcnt vmcnt(6)
	v_mul_f16_sdwa v2, v33, v1 dst_sel:DWORD dst_unused:UNUSED_PAD src0_sel:WORD_1 src1_sel:DWORD
	v_mul_f16_sdwa v3, v33, v5 dst_sel:DWORD dst_unused:UNUSED_PAD src0_sel:WORD_1 src1_sel:DWORD
	v_fma_f16 v2, v33, v5, v2
	v_fma_f16 v1, v33, v1, -v3
	v_pack_b32_f16 v1, v2, v1
	;; [unrolled: 8-line block ×3, first 2 shown]
	v_add_u32_e32 v4, 0x600, v30
	ds_write2_b32 v4, v0, v2 offset0:120 offset1:176
	s_waitcnt vmcnt(3)
	v_lshrrev_b32_e32 v0, 16, v9
	s_waitcnt vmcnt(2)
	v_mul_f16_sdwa v2, v31, v0 dst_sel:DWORD dst_unused:UNUSED_PAD src0_sel:WORD_1 src1_sel:DWORD
	v_mul_f16_sdwa v3, v31, v9 dst_sel:DWORD dst_unused:UNUSED_PAD src0_sel:WORD_1 src1_sel:DWORD
	v_fma_f16 v2, v31, v9, v2
	v_fma_f16 v0, v31, v0, -v3
	v_pack_b32_f16 v0, v2, v0
	ds_write2_b32 v64, v1, v0 offset0:96 offset1:152
	s_waitcnt vmcnt(1)
	v_lshrrev_b32_e32 v0, 16, v10
	s_waitcnt vmcnt(0)
	v_mul_f16_sdwa v1, v29, v0 dst_sel:DWORD dst_unused:UNUSED_PAD src0_sel:WORD_1 src1_sel:DWORD
	v_mul_f16_sdwa v2, v29, v10 dst_sel:DWORD dst_unused:UNUSED_PAD src0_sel:WORD_1 src1_sel:DWORD
	v_fma_f16 v1, v29, v10, v1
	v_fma_f16 v0, v29, v0, -v2
	v_pack_b32_f16 v0, v1, v0
	ds_write_b32 v30, v0 offset:2464
	s_waitcnt lgkmcnt(0)
	; wave barrier
	s_waitcnt lgkmcnt(0)
	ds_read2_b32 v[0:1], v30 offset1:56
	ds_read2_b32 v[2:3], v61 offset0:80 offset1:136
	ds_read2_b32 v[9:10], v30 offset0:112 offset1:168
	ds_read2_b32 v[11:12], v61 offset0:192 offset1:248
	ds_read2_b32 v[13:14], v64 offset0:96 offset1:152
	s_waitcnt lgkmcnt(3)
	v_pk_add_f16 v6, v0, v2 neg_lo:[0,1] neg_hi:[0,1]
	v_pk_fma_f16 v5, v0, 2.0, v6 op_sel_hi:[1,0,1] neg_lo:[0,0,1] neg_hi:[0,0,1]
	v_add_u32_e32 v0, 0x800, v30
	ds_read2_b32 v[15:16], v0 offset0:48 offset1:104
	v_pk_add_f16 v3, v1, v3 neg_lo:[0,1] neg_hi:[0,1]
	s_waitcnt lgkmcnt(2)
	v_pk_add_f16 v18, v9, v11 neg_lo:[0,1] neg_hi:[0,1]
	v_pk_fma_f16 v2, v1, 2.0, v3 op_sel_hi:[1,0,1] neg_lo:[0,0,1] neg_hi:[0,0,1]
	v_pk_fma_f16 v17, v9, 2.0, v18 op_sel_hi:[1,0,1] neg_lo:[0,0,1] neg_hi:[0,0,1]
	s_waitcnt lgkmcnt(0)
	v_pk_add_f16 v20, v13, v15 neg_lo:[0,1] neg_hi:[0,1]
	v_pk_add_f16 v11, v10, v12 neg_lo:[0,1] neg_hi:[0,1]
	v_pk_fma_f16 v19, v13, 2.0, v20 op_sel_hi:[1,0,1] neg_lo:[0,0,1] neg_hi:[0,0,1]
	v_pk_add_f16 v13, v14, v16 neg_lo:[0,1] neg_hi:[0,1]
	v_lshlrev_b32_e32 v1, 1, v41
	v_pk_fma_f16 v10, v10, 2.0, v11 op_sel_hi:[1,0,1] neg_lo:[0,0,1] neg_hi:[0,0,1]
	v_pk_fma_f16 v12, v14, 2.0, v13 op_sel_hi:[1,0,1] neg_lo:[0,0,1] neg_hi:[0,0,1]
	s_waitcnt lgkmcnt(0)
	; wave barrier
	ds_write_b64 v45, v[5:6]
	v_lshlrev_b32_e32 v5, 2, v1
	ds_write_b64 v46, v[2:3]
	ds_write2_b64 v45, v[17:18], v[10:11] offset0:112 offset1:168
	ds_write_b64 v5, v[19:20] offset:1792
	ds_write_b64 v45, v[12:13] offset:2240
	v_and_b32_e32 v17, 1, v41
	v_lshlrev_b32_e32 v2, 2, v17
	s_waitcnt lgkmcnt(0)
	; wave barrier
	s_waitcnt lgkmcnt(0)
	global_load_dword v44, v2, s[14:15]
	ds_read2_b32 v[2:3], v30 offset1:56
	ds_read2_b32 v[5:6], v61 offset0:80 offset1:136
	v_add_u32_e32 v19, 0x118, v41
	v_and_b32_e32 v26, 15, v19
	s_waitcnt lgkmcnt(1)
	v_lshrrev_b32_e32 v7, 16, v2
	s_waitcnt lgkmcnt(0)
	v_lshrrev_b32_e32 v9, 16, v5
	s_waitcnt vmcnt(0)
	v_mul_f16_sdwa v10, v9, v44 dst_sel:DWORD dst_unused:UNUSED_PAD src0_sel:DWORD src1_sel:WORD_1
	v_fma_f16 v10, v5, v44, -v10
	v_mul_f16_sdwa v5, v5, v44 dst_sel:DWORD dst_unused:UNUSED_PAD src0_sel:DWORD src1_sel:WORD_1
	v_fma_f16 v5, v9, v44, v5
	v_sub_f16_e32 v11, v2, v10
	v_sub_f16_e32 v5, v7, v5
	v_fma_f16 v2, v2, 2.0, -v11
	v_fma_f16 v7, v7, 2.0, -v5
	v_pack_b32_f16 v2, v2, v7
	v_and_or_b32 v7, v1, s0, v17
	v_pack_b32_f16 v5, v11, v5
	v_lshlrev_b32_e32 v47, 2, v7
	ds_read2_b32 v[9:10], v30 offset0:112 offset1:168
	ds_read2_b32 v[11:12], v61 offset0:192 offset1:248
	;; [unrolled: 1-line block ×4, first 2 shown]
	s_waitcnt lgkmcnt(0)
	; wave barrier
	s_waitcnt lgkmcnt(0)
	ds_write2_b32 v47, v2, v5 offset1:2
	v_lshrrev_b32_e32 v2, 16, v6
	v_mul_f16_sdwa v5, v2, v44 dst_sel:DWORD dst_unused:UNUSED_PAD src0_sel:DWORD src1_sel:WORD_1
	v_fma_f16 v5, v6, v44, -v5
	v_mul_f16_sdwa v6, v6, v44 dst_sel:DWORD dst_unused:UNUSED_PAD src0_sel:DWORD src1_sel:WORD_1
	v_fma_f16 v2, v2, v44, v6
	v_lshrrev_b32_e32 v6, 16, v3
	v_sub_f16_e32 v5, v3, v5
	v_sub_f16_e32 v2, v6, v2
	v_fma_f16 v3, v3, 2.0, -v5
	v_fma_f16 v6, v6, 2.0, -v2
	v_pack_b32_f16 v6, v3, v6
	s_movk_i32 s0, 0xfc
	v_lshlrev_b32_e32 v3, 1, v81
	v_pack_b32_f16 v2, v5, v2
	v_and_or_b32 v5, v3, s0, v17
	v_lshlrev_b32_e32 v48, 2, v5
	ds_write2_b32 v48, v6, v2 offset1:2
	v_lshrrev_b32_e32 v2, 16, v11
	v_mul_f16_sdwa v5, v11, v44 dst_sel:DWORD dst_unused:UNUSED_PAD src0_sel:DWORD src1_sel:WORD_1
	v_fma_f16 v5, v2, v44, v5
	v_mul_f16_sdwa v2, v2, v44 dst_sel:DWORD dst_unused:UNUSED_PAD src0_sel:DWORD src1_sel:WORD_1
	v_fma_f16 v2, v11, v44, -v2
	v_lshrrev_b32_e32 v6, 16, v9
	v_sub_f16_e32 v2, v9, v2
	v_sub_f16_e32 v5, v6, v5
	v_fma_f16 v6, v6, 2.0, -v5
	v_fma_f16 v7, v9, 2.0, -v2
	v_pack_b32_f16 v6, v7, v6
	v_pack_b32_f16 v7, v2, v5
	v_add_u32_e32 v5, 0x70, v41
	s_movk_i32 s0, 0x1fc
	v_lshlrev_b32_e32 v2, 1, v5
	v_and_or_b32 v9, v2, s0, v17
	v_lshlrev_b32_e32 v49, 2, v9
	ds_write2_b32 v49, v6, v7 offset1:2
	v_lshrrev_b32_e32 v6, 16, v12
	v_mul_f16_sdwa v7, v6, v44 dst_sel:DWORD dst_unused:UNUSED_PAD src0_sel:DWORD src1_sel:WORD_1
	v_mul_f16_sdwa v9, v12, v44 dst_sel:DWORD dst_unused:UNUSED_PAD src0_sel:DWORD src1_sel:WORD_1
	v_fma_f16 v7, v12, v44, -v7
	v_fma_f16 v6, v6, v44, v9
	v_lshrrev_b32_e32 v9, 16, v10
	v_sub_f16_e32 v7, v10, v7
	v_sub_f16_e32 v6, v9, v6
	v_fma_f16 v10, v10, 2.0, -v7
	v_fma_f16 v9, v9, 2.0, -v6
	v_pack_b32_f16 v7, v7, v6
	v_add_u32_e32 v6, 0xa8, v41
	v_pack_b32_f16 v10, v10, v9
	v_lshlrev_b32_e32 v9, 1, v6
	v_and_or_b32 v11, v9, s0, v17
	v_lshlrev_b32_e32 v50, 2, v11
	ds_write2_b32 v50, v10, v7 offset1:2
	v_lshrrev_b32_e32 v7, 16, v15
	v_mul_f16_sdwa v10, v15, v44 dst_sel:DWORD dst_unused:UNUSED_PAD src0_sel:DWORD src1_sel:WORD_1
	v_fma_f16 v10, v7, v44, v10
	v_mul_f16_sdwa v7, v7, v44 dst_sel:DWORD dst_unused:UNUSED_PAD src0_sel:DWORD src1_sel:WORD_1
	v_fma_f16 v7, v15, v44, -v7
	v_lshrrev_b32_e32 v11, 16, v13
	v_sub_f16_e32 v7, v13, v7
	v_sub_f16_e32 v10, v11, v10
	v_fma_f16 v11, v11, 2.0, -v10
	v_fma_f16 v12, v13, 2.0, -v7
	v_pack_b32_f16 v10, v7, v10
	s_movk_i32 s0, 0x3fc
	v_add_u32_e32 v7, 0x1c0, v1
	v_pack_b32_f16 v11, v12, v11
	v_and_or_b32 v12, v7, s0, v17
	v_lshlrev_b32_e32 v52, 2, v12
	ds_write2_b32 v52, v11, v10 offset1:2
	v_lshrrev_b32_e32 v10, 16, v16
	v_mul_f16_sdwa v11, v10, v44 dst_sel:DWORD dst_unused:UNUSED_PAD src0_sel:DWORD src1_sel:WORD_1
	v_mul_f16_sdwa v12, v16, v44 dst_sel:DWORD dst_unused:UNUSED_PAD src0_sel:DWORD src1_sel:WORD_1
	v_fma_f16 v11, v16, v44, -v11
	v_fma_f16 v10, v10, v44, v12
	v_lshrrev_b32_e32 v12, 16, v14
	v_sub_f16_e32 v11, v14, v11
	v_sub_f16_e32 v10, v12, v10
	v_fma_f16 v13, v14, 2.0, -v11
	v_fma_f16 v12, v12, 2.0, -v10
	v_pack_b32_f16 v11, v11, v10
	s_movk_i32 s0, 0x2fc
	v_lshlrev_b32_e32 v10, 1, v19
	v_pack_b32_f16 v12, v13, v12
	v_and_or_b32 v13, v10, s0, v17
	v_lshlrev_b32_e32 v53, 2, v13
	ds_write2_b32 v53, v12, v11 offset1:2
	v_lshlrev_b32_e32 v11, 2, v24
	s_waitcnt lgkmcnt(0)
	; wave barrier
	s_waitcnt lgkmcnt(0)
	global_load_dword v51, v11, s[14:15] offset:8
	ds_read2_b32 v[11:12], v61 offset0:80 offset1:136
	ds_read2_b32 v[13:14], v30 offset1:56
	s_movk_i32 s0, 0x78
	v_and_or_b32 v25, v1, s0, v24
	v_lshlrev_b32_e32 v54, 2, v25
	s_waitcnt lgkmcnt(1)
	v_lshrrev_b32_e32 v15, 16, v11
	s_movk_i32 s0, 0xf8
	v_and_b32_e32 v27, 15, v6
	v_and_b32_e32 v85, 31, v6
	s_waitcnt vmcnt(0)
	v_mul_f16_sdwa v16, v11, v51 dst_sel:DWORD dst_unused:UNUSED_PAD src0_sel:DWORD src1_sel:WORD_1
	v_fma_f16 v16, v15, v51, v16
	v_mul_f16_sdwa v15, v15, v51 dst_sel:DWORD dst_unused:UNUSED_PAD src0_sel:DWORD src1_sel:WORD_1
	v_fma_f16 v11, v11, v51, -v15
	s_waitcnt lgkmcnt(0)
	v_lshrrev_b32_e32 v15, 16, v13
	v_sub_f16_e32 v11, v13, v11
	v_sub_f16_e32 v16, v15, v16
	v_fma_f16 v15, v15, 2.0, -v16
	v_fma_f16 v13, v13, 2.0, -v11
	v_pack_b32_f16 v13, v13, v15
	v_pack_b32_f16 v11, v11, v16
	ds_read2_b32 v[15:16], v30 offset0:112 offset1:168
	ds_read2_b32 v[17:18], v61 offset0:192 offset1:248
	ds_read2_b32 v[20:21], v64 offset0:96 offset1:152
	ds_read2_b32 v[22:23], v0 offset0:48 offset1:104
	s_waitcnt lgkmcnt(0)
	; wave barrier
	s_waitcnt lgkmcnt(0)
	ds_write2_b32 v54, v13, v11 offset1:4
	v_lshrrev_b32_e32 v11, 16, v12
	v_mul_f16_sdwa v13, v11, v51 dst_sel:DWORD dst_unused:UNUSED_PAD src0_sel:DWORD src1_sel:WORD_1
	v_fma_f16 v13, v12, v51, -v13
	v_mul_f16_sdwa v12, v12, v51 dst_sel:DWORD dst_unused:UNUSED_PAD src0_sel:DWORD src1_sel:WORD_1
	v_fma_f16 v11, v11, v51, v12
	v_sub_f16_e32 v12, v14, v13
	v_lshrrev_b32_e32 v13, 16, v14
	v_sub_f16_e32 v11, v13, v11
	v_fma_f16 v14, v14, 2.0, -v12
	v_fma_f16 v13, v13, 2.0, -v11
	v_pack_b32_f16 v11, v12, v11
	v_and_or_b32 v12, v3, s0, v24
	v_pack_b32_f16 v13, v14, v13
	v_lshlrev_b32_e32 v55, 2, v12
	ds_write2_b32 v55, v13, v11 offset1:4
	v_lshrrev_b32_e32 v11, 16, v17
	v_mul_f16_sdwa v12, v17, v51 dst_sel:DWORD dst_unused:UNUSED_PAD src0_sel:DWORD src1_sel:WORD_1
	v_fma_f16 v12, v11, v51, v12
	v_mul_f16_sdwa v11, v11, v51 dst_sel:DWORD dst_unused:UNUSED_PAD src0_sel:DWORD src1_sel:WORD_1
	v_fma_f16 v11, v17, v51, -v11
	v_lshrrev_b32_e32 v13, 16, v15
	v_sub_f16_e32 v11, v15, v11
	v_sub_f16_e32 v12, v13, v12
	s_movk_i32 s0, 0x1f8
	v_fma_f16 v13, v13, 2.0, -v12
	v_fma_f16 v14, v15, 2.0, -v11
	v_pack_b32_f16 v11, v11, v12
	v_and_or_b32 v12, v2, s0, v24
	v_pack_b32_f16 v13, v14, v13
	v_lshlrev_b32_e32 v56, 2, v12
	ds_write2_b32 v56, v13, v11 offset1:4
	v_lshrrev_b32_e32 v11, 16, v18
	v_mul_f16_sdwa v12, v11, v51 dst_sel:DWORD dst_unused:UNUSED_PAD src0_sel:DWORD src1_sel:WORD_1
	v_mul_f16_sdwa v13, v18, v51 dst_sel:DWORD dst_unused:UNUSED_PAD src0_sel:DWORD src1_sel:WORD_1
	v_fma_f16 v12, v18, v51, -v12
	v_fma_f16 v11, v11, v51, v13
	v_lshrrev_b32_e32 v13, 16, v16
	v_sub_f16_e32 v12, v16, v12
	v_sub_f16_e32 v11, v13, v11
	v_fma_f16 v14, v16, 2.0, -v12
	v_fma_f16 v13, v13, 2.0, -v11
	v_pack_b32_f16 v11, v12, v11
	v_and_or_b32 v12, v9, s0, v24
	v_pack_b32_f16 v13, v14, v13
	v_lshlrev_b32_e32 v57, 2, v12
	ds_write2_b32 v57, v13, v11 offset1:4
	v_lshrrev_b32_e32 v11, 16, v22
	v_mul_f16_sdwa v12, v22, v51 dst_sel:DWORD dst_unused:UNUSED_PAD src0_sel:DWORD src1_sel:WORD_1
	v_fma_f16 v12, v11, v51, v12
	v_mul_f16_sdwa v11, v11, v51 dst_sel:DWORD dst_unused:UNUSED_PAD src0_sel:DWORD src1_sel:WORD_1
	v_fma_f16 v11, v22, v51, -v11
	v_lshrrev_b32_e32 v13, 16, v20
	v_sub_f16_e32 v11, v20, v11
	v_sub_f16_e32 v12, v13, v12
	s_movk_i32 s0, 0x3f8
	v_fma_f16 v13, v13, 2.0, -v12
	v_fma_f16 v14, v20, 2.0, -v11
	v_pack_b32_f16 v11, v11, v12
	v_and_or_b32 v12, v7, s0, v24
	v_pack_b32_f16 v13, v14, v13
	v_lshlrev_b32_e32 v59, 2, v12
	ds_write2_b32 v59, v13, v11 offset1:4
	v_lshrrev_b32_e32 v11, 16, v23
	v_mul_f16_sdwa v12, v11, v51 dst_sel:DWORD dst_unused:UNUSED_PAD src0_sel:DWORD src1_sel:WORD_1
	v_mul_f16_sdwa v13, v23, v51 dst_sel:DWORD dst_unused:UNUSED_PAD src0_sel:DWORD src1_sel:WORD_1
	v_fma_f16 v12, v23, v51, -v12
	v_fma_f16 v11, v11, v51, v13
	v_lshrrev_b32_e32 v13, 16, v21
	v_sub_f16_e32 v12, v21, v12
	v_sub_f16_e32 v11, v13, v11
	s_movk_i32 s0, 0x2f8
	v_fma_f16 v14, v21, 2.0, -v12
	v_fma_f16 v13, v13, 2.0, -v11
	v_pack_b32_f16 v11, v12, v11
	v_and_or_b32 v12, v10, s0, v24
	v_pack_b32_f16 v13, v14, v13
	v_lshlrev_b32_e32 v60, 2, v12
	v_and_b32_e32 v24, 7, v41
	ds_write2_b32 v60, v13, v11 offset1:4
	v_lshlrev_b32_e32 v11, 2, v24
	s_waitcnt lgkmcnt(0)
	; wave barrier
	s_waitcnt lgkmcnt(0)
	global_load_dword v58, v11, s[14:15] offset:24
	ds_read2_b32 v[11:12], v61 offset0:80 offset1:136
	ds_read2_b32 v[13:14], v30 offset1:56
	s_movk_i32 s0, 0x70
	v_and_or_b32 v25, v1, s0, v24
	v_lshlrev_b32_e32 v62, 2, v25
	s_waitcnt lgkmcnt(1)
	v_lshrrev_b32_e32 v15, 16, v11
	s_movk_i32 s0, 0xf0
	v_and_b32_e32 v25, 15, v81
	s_waitcnt vmcnt(0)
	v_mul_f16_sdwa v16, v11, v58 dst_sel:DWORD dst_unused:UNUSED_PAD src0_sel:DWORD src1_sel:WORD_1
	v_fma_f16 v16, v15, v58, v16
	v_mul_f16_sdwa v15, v15, v58 dst_sel:DWORD dst_unused:UNUSED_PAD src0_sel:DWORD src1_sel:WORD_1
	v_fma_f16 v11, v11, v58, -v15
	s_waitcnt lgkmcnt(0)
	v_lshrrev_b32_e32 v15, 16, v13
	v_sub_f16_e32 v11, v13, v11
	v_sub_f16_e32 v16, v15, v16
	v_fma_f16 v15, v15, 2.0, -v16
	v_fma_f16 v13, v13, 2.0, -v11
	v_pack_b32_f16 v13, v13, v15
	v_pack_b32_f16 v11, v11, v16
	ds_read2_b32 v[15:16], v30 offset0:112 offset1:168
	ds_read2_b32 v[17:18], v61 offset0:192 offset1:248
	;; [unrolled: 1-line block ×4, first 2 shown]
	s_waitcnt lgkmcnt(0)
	; wave barrier
	s_waitcnt lgkmcnt(0)
	ds_write2_b32 v62, v13, v11 offset1:8
	v_lshrrev_b32_e32 v11, 16, v12
	v_mul_f16_sdwa v13, v11, v58 dst_sel:DWORD dst_unused:UNUSED_PAD src0_sel:DWORD src1_sel:WORD_1
	v_fma_f16 v13, v12, v58, -v13
	v_mul_f16_sdwa v12, v12, v58 dst_sel:DWORD dst_unused:UNUSED_PAD src0_sel:DWORD src1_sel:WORD_1
	v_fma_f16 v11, v11, v58, v12
	v_sub_f16_e32 v12, v14, v13
	v_lshrrev_b32_e32 v13, 16, v14
	v_sub_f16_e32 v11, v13, v11
	v_fma_f16 v14, v14, 2.0, -v12
	v_fma_f16 v13, v13, 2.0, -v11
	v_pack_b32_f16 v11, v12, v11
	v_and_or_b32 v12, v3, s0, v24
	v_pack_b32_f16 v13, v14, v13
	v_lshlrev_b32_e32 v63, 2, v12
	ds_write2_b32 v63, v13, v11 offset1:8
	v_lshrrev_b32_e32 v11, 16, v17
	v_mul_f16_sdwa v12, v17, v58 dst_sel:DWORD dst_unused:UNUSED_PAD src0_sel:DWORD src1_sel:WORD_1
	v_fma_f16 v12, v11, v58, v12
	v_mul_f16_sdwa v11, v11, v58 dst_sel:DWORD dst_unused:UNUSED_PAD src0_sel:DWORD src1_sel:WORD_1
	v_fma_f16 v11, v17, v58, -v11
	v_lshrrev_b32_e32 v13, 16, v15
	v_sub_f16_e32 v11, v15, v11
	v_sub_f16_e32 v12, v13, v12
	s_movk_i32 s0, 0x1f0
	v_fma_f16 v13, v13, 2.0, -v12
	v_fma_f16 v14, v15, 2.0, -v11
	v_pack_b32_f16 v11, v11, v12
	v_and_or_b32 v12, v2, s0, v24
	v_pack_b32_f16 v13, v14, v13
	v_lshlrev_b32_e32 v65, 2, v12
	ds_write2_b32 v65, v13, v11 offset1:8
	v_lshrrev_b32_e32 v11, 16, v18
	v_mul_f16_sdwa v12, v11, v58 dst_sel:DWORD dst_unused:UNUSED_PAD src0_sel:DWORD src1_sel:WORD_1
	v_mul_f16_sdwa v13, v18, v58 dst_sel:DWORD dst_unused:UNUSED_PAD src0_sel:DWORD src1_sel:WORD_1
	v_fma_f16 v12, v18, v58, -v12
	v_fma_f16 v11, v11, v58, v13
	v_lshrrev_b32_e32 v13, 16, v16
	v_sub_f16_e32 v12, v16, v12
	v_sub_f16_e32 v11, v13, v11
	v_fma_f16 v14, v16, 2.0, -v12
	v_fma_f16 v13, v13, 2.0, -v11
	v_pack_b32_f16 v11, v12, v11
	v_and_or_b32 v12, v9, s0, v24
	v_pack_b32_f16 v13, v14, v13
	v_lshlrev_b32_e32 v66, 2, v12
	ds_write2_b32 v66, v13, v11 offset1:8
	v_lshrrev_b32_e32 v11, 16, v22
	v_mul_f16_sdwa v12, v22, v58 dst_sel:DWORD dst_unused:UNUSED_PAD src0_sel:DWORD src1_sel:WORD_1
	v_fma_f16 v12, v11, v58, v12
	v_mul_f16_sdwa v11, v11, v58 dst_sel:DWORD dst_unused:UNUSED_PAD src0_sel:DWORD src1_sel:WORD_1
	v_fma_f16 v11, v22, v58, -v11
	v_lshrrev_b32_e32 v13, 16, v20
	v_sub_f16_e32 v11, v20, v11
	v_sub_f16_e32 v12, v13, v12
	s_movk_i32 s0, 0x3f0
	v_fma_f16 v13, v13, 2.0, -v12
	v_fma_f16 v14, v20, 2.0, -v11
	v_pack_b32_f16 v11, v11, v12
	v_and_or_b32 v12, v7, s0, v24
	v_pack_b32_f16 v13, v14, v13
	v_lshlrev_b32_e32 v68, 2, v12
	ds_write2_b32 v68, v13, v11 offset1:8
	v_lshrrev_b32_e32 v11, 16, v23
	v_mul_f16_sdwa v12, v11, v58 dst_sel:DWORD dst_unused:UNUSED_PAD src0_sel:DWORD src1_sel:WORD_1
	v_mul_f16_sdwa v13, v23, v58 dst_sel:DWORD dst_unused:UNUSED_PAD src0_sel:DWORD src1_sel:WORD_1
	v_fma_f16 v12, v23, v58, -v12
	v_fma_f16 v11, v11, v58, v13
	v_lshrrev_b32_e32 v13, 16, v21
	v_sub_f16_e32 v12, v21, v12
	v_sub_f16_e32 v11, v13, v11
	s_movk_i32 s0, 0x2f0
	v_fma_f16 v14, v21, 2.0, -v12
	v_fma_f16 v13, v13, 2.0, -v11
	v_pack_b32_f16 v11, v12, v11
	v_and_or_b32 v12, v10, s0, v24
	v_pack_b32_f16 v13, v14, v13
	v_lshlrev_b32_e32 v69, 2, v12
	v_and_b32_e32 v24, 15, v41
	ds_write2_b32 v69, v13, v11 offset1:8
	v_lshlrev_b32_e32 v11, 2, v24
	s_waitcnt lgkmcnt(0)
	; wave barrier
	s_waitcnt lgkmcnt(0)
	global_load_dword v67, v11, s[14:15] offset:56
	v_lshlrev_b32_e32 v12, 2, v26
	v_lshlrev_b32_e32 v11, 2, v25
	global_load_ushort v70, v12, s[14:15] offset:58
	global_load_dword v71, v12, s[14:15] offset:56
	global_load_ushort v76, v11, s[14:15] offset:56
	v_lshlrev_b32_e32 v11, 2, v27
	global_load_ushort v74, v11, s[14:15] offset:58
	global_load_ushort v73, v11, s[14:15] offset:56
	ds_read2_b32 v[11:12], v61 offset0:80 offset1:136
	ds_read2_b32 v[13:14], v30 offset1:56
	s_movk_i32 s0, 0x60
	v_and_or_b32 v1, v1, s0, v24
	v_lshlrev_b32_e32 v72, 2, v1
	s_waitcnt lgkmcnt(1)
	v_lshrrev_b32_e32 v15, 16, v11
	v_lshrrev_b32_e32 v1, 16, v12
	s_movk_i32 s0, 0xe0
	v_and_or_b32 v3, v3, s0, v25
	v_lshlrev_b32_e32 v75, 2, v3
	s_movk_i32 s0, 0x1e0
	v_and_or_b32 v2, v2, s0, v24
	v_lshlrev_b32_e32 v77, 2, v2
	v_and_or_b32 v9, v9, s0, v27
	v_lshlrev_b32_e32 v78, 2, v9
	s_movk_i32 s0, 0x3e0
	s_waitcnt vmcnt(5)
	v_mul_f16_sdwa v16, v11, v67 dst_sel:DWORD dst_unused:UNUSED_PAD src0_sel:DWORD src1_sel:WORD_1
	v_fma_f16 v16, v15, v67, v16
	v_mul_f16_sdwa v15, v15, v67 dst_sel:DWORD dst_unused:UNUSED_PAD src0_sel:DWORD src1_sel:WORD_1
	v_fma_f16 v11, v11, v67, -v15
	s_waitcnt lgkmcnt(0)
	v_lshrrev_b32_e32 v15, 16, v13
	v_sub_f16_e32 v11, v13, v11
	v_sub_f16_e32 v16, v15, v16
	v_fma_f16 v15, v15, 2.0, -v16
	v_fma_f16 v13, v13, 2.0, -v11
	v_pack_b32_f16 v13, v13, v15
	v_pack_b32_f16 v11, v11, v16
	ds_read2_b32 v[15:16], v30 offset0:112 offset1:168
	ds_read2_b32 v[17:18], v61 offset0:192 offset1:248
	;; [unrolled: 1-line block ×4, first 2 shown]
	s_waitcnt lgkmcnt(0)
	; wave barrier
	s_waitcnt lgkmcnt(0)
	ds_write2_b32 v72, v13, v11 offset1:16
	s_waitcnt vmcnt(3)
	v_mul_f16_sdwa v11, v1, v71 dst_sel:DWORD dst_unused:UNUSED_PAD src0_sel:DWORD src1_sel:WORD_1
	s_waitcnt vmcnt(2)
	v_fma_f16 v11, v12, v76, -v11
	v_mul_f16_sdwa v12, v12, v71 dst_sel:DWORD dst_unused:UNUSED_PAD src0_sel:DWORD src1_sel:WORD_1
	v_fma_f16 v1, v1, v76, v12
	v_lshrrev_b32_e32 v12, 16, v14
	v_sub_f16_e32 v11, v14, v11
	v_sub_f16_e32 v1, v12, v1
	v_fma_f16 v13, v14, 2.0, -v11
	v_fma_f16 v12, v12, 2.0, -v1
	v_pack_b32_f16 v12, v13, v12
	v_pack_b32_f16 v1, v11, v1
	ds_write2_b32 v75, v12, v1 offset1:16
	v_lshrrev_b32_e32 v1, 16, v17
	v_mul_f16_sdwa v3, v17, v67 dst_sel:DWORD dst_unused:UNUSED_PAD src0_sel:DWORD src1_sel:WORD_1
	v_fma_f16 v3, v1, v67, v3
	v_mul_f16_sdwa v1, v1, v67 dst_sel:DWORD dst_unused:UNUSED_PAD src0_sel:DWORD src1_sel:WORD_1
	v_fma_f16 v1, v17, v67, -v1
	v_lshrrev_b32_e32 v11, 16, v15
	v_sub_f16_e32 v1, v15, v1
	v_sub_f16_e32 v3, v11, v3
	v_fma_f16 v11, v11, 2.0, -v3
	v_fma_f16 v12, v15, 2.0, -v1
	v_pack_b32_f16 v11, v12, v11
	v_pack_b32_f16 v1, v1, v3
	ds_write2_b32 v77, v11, v1 offset1:16
	v_lshrrev_b32_e32 v1, 16, v18
	s_waitcnt vmcnt(1)
	v_mul_f16_e32 v2, v1, v74
	v_mul_f16_e32 v3, v18, v74
	s_waitcnt vmcnt(0)
	v_fma_f16 v2, v18, v73, -v2
	v_fma_f16 v1, v1, v73, v3
	v_lshrrev_b32_e32 v3, 16, v16
	v_sub_f16_e32 v2, v16, v2
	v_sub_f16_e32 v1, v3, v1
	v_fma_f16 v11, v16, 2.0, -v2
	v_fma_f16 v3, v3, 2.0, -v1
	v_pack_b32_f16 v3, v11, v3
	v_pack_b32_f16 v1, v2, v1
	ds_write2_b32 v78, v3, v1 offset1:16
	v_lshrrev_b32_e32 v1, 16, v22
	v_mul_f16_sdwa v2, v22, v67 dst_sel:DWORD dst_unused:UNUSED_PAD src0_sel:DWORD src1_sel:WORD_1
	v_fma_f16 v2, v1, v67, v2
	v_mul_f16_sdwa v1, v1, v67 dst_sel:DWORD dst_unused:UNUSED_PAD src0_sel:DWORD src1_sel:WORD_1
	v_fma_f16 v1, v22, v67, -v1
	v_lshrrev_b32_e32 v3, 16, v20
	v_sub_f16_e32 v1, v20, v1
	v_sub_f16_e32 v2, v3, v2
	v_fma_f16 v3, v3, 2.0, -v2
	v_fma_f16 v9, v20, 2.0, -v1
	v_pack_b32_f16 v1, v1, v2
	v_and_or_b32 v2, v7, s0, v24
	v_pack_b32_f16 v3, v9, v3
	v_lshlrev_b32_e32 v79, 2, v2
	ds_write2_b32 v79, v3, v1 offset1:16
	v_lshrrev_b32_e32 v1, 16, v23
	v_mul_f16_e32 v2, v1, v70
	v_mul_f16_e32 v3, v23, v70
	v_fma_f16 v2, v23, v71, -v2
	v_fma_f16 v1, v1, v71, v3
	v_lshrrev_b32_e32 v3, 16, v21
	v_sub_f16_e32 v2, v21, v2
	s_movk_i32 s0, 0x2e0
	v_sub_f16_e32 v1, v3, v1
	v_fma_f16 v9, v21, 2.0, -v2
	v_and_or_b32 v10, v10, s0, v26
	v_fma_f16 v3, v3, 2.0, -v1
	v_pack_b32_f16 v3, v9, v3
	v_pack_b32_f16 v1, v2, v1
	v_lshlrev_b32_e32 v80, 2, v10
	ds_write2_b32 v80, v3, v1 offset1:16
	v_and_b32_e32 v3, 31, v5
	v_lshlrev_b32_e32 v1, 3, v3
	s_waitcnt lgkmcnt(0)
	; wave barrier
	s_waitcnt lgkmcnt(0)
	global_load_dwordx2 v[9:10], v1, s[14:15] offset:120
	v_and_b32_e32 v20, 31, v41
	v_lshlrev_b32_e32 v1, 3, v20
	global_load_dwordx2 v[11:12], v1, s[14:15] offset:120
	v_lshlrev_b32_e32 v2, 3, v85
	v_lshlrev_b32_e32 v1, 3, v83
	global_load_dwordx2 v[13:14], v2, s[14:15] offset:120
	global_load_dwordx2 v[15:16], v1, s[14:15] offset:120
	ds_read2_b32 v[1:2], v61 offset0:80 offset1:136
	ds_read2_b32 v[17:18], v0 offset0:48 offset1:104
	s_movk_i32 s0, 0x3aee
	ds_read2_b32 v[23:24], v64 offset0:96 offset1:152
	ds_read2_b32 v[27:28], v30 offset1:56
	s_waitcnt lgkmcnt(3)
	v_lshrrev_b32_e32 v21, 16, v1
	s_waitcnt lgkmcnt(1)
	v_lshrrev_b32_e32 v82, 16, v23
	s_waitcnt lgkmcnt(0)
	v_lshrrev_b32_e32 v91, 16, v27
	s_waitcnt vmcnt(3)
	v_mul_f16_sdwa v0, v1, v9 dst_sel:DWORD dst_unused:UNUSED_PAD src0_sel:DWORD src1_sel:WORD_1
	v_fma_f16 v84, v21, v9, v0
	v_mul_f16_sdwa v0, v21, v9 dst_sel:DWORD dst_unused:UNUSED_PAD src0_sel:DWORD src1_sel:WORD_1
	v_fma_f16 v86, v1, v9, -v0
	v_lshrrev_b32_e32 v0, 16, v17
	v_mul_f16_sdwa v1, v17, v10 dst_sel:DWORD dst_unused:UNUSED_PAD src0_sel:DWORD src1_sel:WORD_1
	v_fma_f16 v87, v0, v10, v1
	v_mul_f16_sdwa v21, v0, v10 dst_sel:DWORD dst_unused:UNUSED_PAD src0_sel:DWORD src1_sel:WORD_1
	ds_read2_b32 v[0:1], v30 offset0:112 offset1:168
	v_fma_f16 v17, v17, v10, -v21
	v_add_f16_e32 v21, v86, v17
	v_sub_f16_e32 v25, v84, v87
	s_waitcnt vmcnt(2)
	v_mul_f16_sdwa v88, v23, v11 dst_sel:DWORD dst_unused:UNUSED_PAD src0_sel:DWORD src1_sel:WORD_1
	s_waitcnt lgkmcnt(0)
	v_fma_f16 v22, v21, -0.5, v0
	v_fma_f16 v21, v25, s0, v22
	v_fma_f16 v22, v25, s1, v22
	ds_read2_b32 v[25:26], v61 offset0:192 offset1:248
	v_fma_f16 v88, v82, v11, v88
	v_mul_f16_sdwa v82, v82, v11 dst_sel:DWORD dst_unused:UNUSED_PAD src0_sel:DWORD src1_sel:WORD_1
	v_fma_f16 v23, v23, v11, -v82
	v_add_f16_e32 v92, v91, v88
	s_waitcnt lgkmcnt(0)
	v_lshrrev_b32_e32 v89, 16, v25
	v_mul_f16_sdwa v90, v25, v12 dst_sel:DWORD dst_unused:UNUSED_PAD src0_sel:DWORD src1_sel:WORD_1
	v_mul_f16_sdwa v82, v89, v12 dst_sel:DWORD dst_unused:UNUSED_PAD src0_sel:DWORD src1_sel:WORD_1
	v_fma_f16 v90, v89, v12, v90
	v_fma_f16 v25, v25, v12, -v82
	v_add_f16_e32 v82, v27, v23
	v_sub_f16_e32 v93, v88, v90
	v_add_f16_e32 v88, v88, v90
	v_add_f16_e32 v82, v82, v25
	;; [unrolled: 1-line block ×3, first 2 shown]
	v_sub_f16_e32 v23, v23, v25
	v_lshrrev_b32_e32 v25, 5, v41
	v_add_f16_e32 v92, v92, v90
	v_fma_f16 v88, v88, -0.5, v91
	v_mul_u32_u24_e32 v25, 0x60, v25
	v_fma_f16 v27, v89, -0.5, v27
	v_or_b32_e32 v20, v25, v20
	v_pack_b32_f16 v25, v82, v92
	v_fma_f16 v82, v93, s0, v27
	v_fma_f16 v89, v23, s1, v88
	v_pack_b32_f16 v89, v82, v89
	v_lshlrev_b32_e32 v82, 2, v20
	v_lshrrev_b32_e32 v20, 16, v24
	s_waitcnt lgkmcnt(0)
	; wave barrier
	ds_write2_b32 v82, v25, v89 offset1:32
	s_waitcnt vmcnt(0)
	v_mul_f16_sdwa v25, v20, v15 dst_sel:DWORD dst_unused:UNUSED_PAD src0_sel:DWORD src1_sel:WORD_1
	v_fma_f16 v25, v24, v15, -v25
	v_mul_f16_sdwa v24, v24, v15 dst_sel:DWORD dst_unused:UNUSED_PAD src0_sel:DWORD src1_sel:WORD_1
	v_fma_f16 v20, v20, v15, v24
	v_lshrrev_b32_e32 v24, 16, v26
	v_mul_f16_sdwa v89, v24, v16 dst_sel:DWORD dst_unused:UNUSED_PAD src0_sel:DWORD src1_sel:WORD_1
	v_fma_f16 v89, v26, v16, -v89
	v_mul_f16_sdwa v26, v26, v16 dst_sel:DWORD dst_unused:UNUSED_PAD src0_sel:DWORD src1_sel:WORD_1
	v_fma_f16 v24, v24, v16, v26
	v_fma_f16 v26, v93, s1, v27
	v_fma_f16 v23, v23, s0, v88
	v_pack_b32_f16 v23, v26, v23
	v_lshrrev_b32_e32 v88, 16, v28
	ds_write_b32 v82, v23 offset:256
	v_lshrrev_b32_e32 v23, 5, v81
	v_add_f16_e32 v27, v25, v89
	v_add_f16_e32 v90, v88, v20
	v_sub_f16_e32 v91, v20, v24
	v_add_f16_e32 v20, v20, v24
	v_mul_u32_u24_e32 v23, 0x60, v23
	v_fma_f16 v27, v27, -0.5, v28
	v_add_f16_e32 v28, v28, v25
	v_fma_f16 v20, v20, -0.5, v88
	v_sub_f16_e32 v25, v25, v89
	v_or_b32_e32 v23, v23, v83
	v_add_f16_e32 v90, v90, v24
	v_add_f16_e32 v24, v28, v89
	v_fma_f16 v26, v91, s0, v27
	v_fma_f16 v28, v25, s1, v20
	v_lshlrev_b32_e32 v83, 2, v23
	v_fma_f16 v23, v91, s1, v27
	v_fma_f16 v20, v25, s0, v20
	v_pack_b32_f16 v24, v24, v90
	v_pack_b32_f16 v26, v26, v28
	;; [unrolled: 1-line block ×3, first 2 shown]
	ds_write2_b32 v83, v24, v26 offset1:32
	v_lshrrev_b32_e32 v24, 16, v0
	v_add_f16_e32 v26, v84, v87
	v_add_f16_e32 v0, v0, v86
	ds_write_b32 v83, v20 offset:256
	v_lshrrev_b32_e32 v20, 5, v5
	v_add_f16_e32 v25, v24, v84
	v_fma_f16 v24, v26, -0.5, v24
	v_add_f16_e32 v0, v0, v17
	v_sub_f16_e32 v17, v86, v17
	v_mul_u32_u24_e32 v20, 0x60, v20
	v_add_f16_e32 v25, v25, v87
	v_or_b32_e32 v3, v20, v3
	v_fma_f16 v90, v17, s1, v24
	v_pack_b32_f16 v0, v0, v25
	v_lshlrev_b32_e32 v84, 2, v3
	v_pack_b32_f16 v3, v21, v90
	ds_write2_b32 v84, v0, v3 offset1:32
	v_lshrrev_b32_e32 v0, 16, v2
	v_mul_f16_sdwa v3, v0, v13 dst_sel:DWORD dst_unused:UNUSED_PAD src0_sel:DWORD src1_sel:WORD_1
	v_fma_f16 v3, v2, v13, -v3
	v_mul_f16_sdwa v2, v2, v13 dst_sel:DWORD dst_unused:UNUSED_PAD src0_sel:DWORD src1_sel:WORD_1
	v_fma_f16 v0, v0, v13, v2
	v_lshrrev_b32_e32 v2, 16, v18
	v_mul_f16_sdwa v20, v2, v14 dst_sel:DWORD dst_unused:UNUSED_PAD src0_sel:DWORD src1_sel:WORD_1
	v_fma_f16 v20, v18, v14, -v20
	v_fma_f16 v94, v17, s0, v24
	v_add_f16_e32 v17, v3, v20
	v_mul_f16_sdwa v18, v18, v14 dst_sel:DWORD dst_unused:UNUSED_PAD src0_sel:DWORD src1_sel:WORD_1
	v_fma_f16 v23, v17, -0.5, v1
	v_lshrrev_b32_e32 v17, 16, v1
	v_fma_f16 v2, v2, v14, v18
	v_add_f16_e32 v18, v17, v0
	v_add_f16_e32 v95, v18, v2
	v_sub_f16_e32 v24, v0, v2
	v_add_f16_e32 v0, v0, v2
	v_pack_b32_f16 v2, v22, v94
	ds_write_b32 v84, v2 offset:256
	v_lshrrev_b32_e32 v2, 5, v6
	v_add_f16_e32 v1, v1, v3
	v_fma_f16 v0, v0, -0.5, v17
	v_mul_u32_u24_e32 v2, 0x60, v2
	v_sub_f16_e32 v3, v3, v20
	v_or_b32_e32 v2, v2, v85
	v_add_f16_e32 v17, v1, v20
	v_fma_f16 v18, v24, s0, v23
	v_fma_f16 v96, v3, s1, v0
	;; [unrolled: 1-line block ×4, first 2 shown]
	v_lshlrev_b32_e32 v85, 2, v2
	v_pack_b32_f16 v1, v17, v95
	v_pack_b32_f16 v2, v18, v96
	;; [unrolled: 1-line block ×3, first 2 shown]
	ds_write2_b32 v85, v1, v2 offset1:32
	ds_write_b32 v85, v0 offset:256
	s_waitcnt lgkmcnt(0)
	; wave barrier
	s_waitcnt lgkmcnt(0)
	ds_read_b32 v98, v30 offset:2304
	ds_read2_b32 v[25:26], v30 offset1:96
	ds_read2_b32 v[2:3], v64 offset0:64 offset1:160
	ds_read2_b32 v[0:1], v61 offset0:128 offset1:224
	v_mov_b32_e32 v20, s13
	v_add_co_u32_e32 v23, vcc, s12, v30
	v_addc_co_u32_e32 v24, vcc, 0, v20, vcc
	v_cmp_gt_u16_e32 vcc, 40, v41
                                        ; implicit-def: $vgpr93
                                        ; implicit-def: $vgpr92
                                        ; implicit-def: $vgpr91
	s_and_saveexec_b64 s[0:1], vcc
	s_cbranch_execz .LBB0_3
; %bb.2:
	ds_read2_b32 v[21:22], v30 offset0:56 offset1:152
	ds_read2_b32 v[17:18], v64 offset0:120 offset1:216
	;; [unrolled: 1-line block ×3, first 2 shown]
	ds_read_b32 v92, v30 offset:2528
	s_waitcnt lgkmcnt(3)
	v_lshrrev_b32_e32 v90, 16, v21
	v_lshrrev_b32_e32 v94, 16, v22
	s_waitcnt lgkmcnt(2)
	v_lshrrev_b32_e32 v95, 16, v17
	v_lshrrev_b32_e32 v96, 16, v18
	;; [unrolled: 3-line block ×3, first 2 shown]
	s_waitcnt lgkmcnt(0)
	v_lshrrev_b32_e32 v91, 16, v92
.LBB0_3:
	s_or_b64 exec, exec, s[0:1]
	v_lshlrev_b32_e32 v86, 3, v19
	v_mad_u64_u32 v[19:20], s[0:1], v41, 24, s[14:15]
	v_lshlrev_b32_e32 v89, 3, v5
	v_lshlrev_b32_e32 v88, 3, v6
	;; [unrolled: 1-line block ×3, first 2 shown]
	global_load_dwordx4 v[4:7], v[19:20], off offset:376
	s_waitcnt lgkmcnt(2)
	v_lshrrev_b32_e32 v99, 16, v26
	global_load_dwordx2 v[19:20], v[19:20], off offset:392
	s_waitcnt lgkmcnt(1)
	v_lshrrev_b32_e32 v100, 16, v2
	v_lshrrev_b32_e32 v101, 16, v3
	s_waitcnt lgkmcnt(0)
	v_lshrrev_b32_e32 v102, 16, v0
	v_lshrrev_b32_e32 v103, 16, v1
	v_lshrrev_b32_e32 v104, 16, v98
	s_movk_i32 s5, 0x39e0
	s_mov_b32 s4, 0xbcab
	s_movk_i32 s6, 0x3574
	s_movk_i32 s7, 0x370e
	s_waitcnt vmcnt(1)
	v_mul_f16_sdwa v105, v99, v4 dst_sel:DWORD dst_unused:UNUSED_PAD src0_sel:DWORD src1_sel:WORD_1
	v_fma_f16 v105, v26, v4, -v105
	v_mul_f16_sdwa v26, v26, v4 dst_sel:DWORD dst_unused:UNUSED_PAD src0_sel:DWORD src1_sel:WORD_1
	v_fma_f16 v26, v99, v4, v26
	v_mul_f16_sdwa v99, v100, v5 dst_sel:DWORD dst_unused:UNUSED_PAD src0_sel:DWORD src1_sel:WORD_1
	v_fma_f16 v106, v2, v5, -v99
	v_mul_f16_sdwa v2, v2, v5 dst_sel:DWORD dst_unused:UNUSED_PAD src0_sel:DWORD src1_sel:WORD_1
	v_fma_f16 v100, v100, v5, v2
	;; [unrolled: 4-line block ×4, first 2 shown]
	s_waitcnt vmcnt(0)
	v_mul_f16_sdwa v0, v103, v19 dst_sel:DWORD dst_unused:UNUSED_PAD src0_sel:DWORD src1_sel:WORD_1
	v_fma_f16 v109, v1, v19, -v0
	v_mul_f16_sdwa v0, v1, v19 dst_sel:DWORD dst_unused:UNUSED_PAD src0_sel:DWORD src1_sel:WORD_1
	v_fma_f16 v103, v103, v19, v0
	v_mul_f16_sdwa v0, v104, v20 dst_sel:DWORD dst_unused:UNUSED_PAD src0_sel:DWORD src1_sel:WORD_1
	v_fma_f16 v110, v98, v20, -v0
	v_mul_f16_sdwa v0, v98, v20 dst_sel:DWORD dst_unused:UNUSED_PAD src0_sel:DWORD src1_sel:WORD_1
	v_fma_f16 v104, v104, v20, v0
	v_subrev_u32_e32 v0, 40, v41
	v_cndmask_b32_e32 v0, v0, v81, vcc
	v_mul_hi_i32_i24_e32 v1, 24, v0
	v_mul_i32_i24_e32 v0, 24, v0
	v_add_co_u32_e64 v98, s[0:1], s14, v0
	v_mov_b32_e32 v0, s15
	v_addc_co_u32_e64 v99, s[0:1], v0, v1, s[0:1]
	global_load_dwordx4 v[0:3], v[98:99], off offset:376
	s_movk_i32 s1, 0x3b00
	s_movk_i32 s0, 0x2b26
	s_waitcnt vmcnt(0)
	v_mul_f16_sdwa v81, v94, v0 dst_sel:DWORD dst_unused:UNUSED_PAD src0_sel:DWORD src1_sel:WORD_1
	v_fma_f16 v81, v22, v0, -v81
	v_mul_f16_sdwa v22, v22, v0 dst_sel:DWORD dst_unused:UNUSED_PAD src0_sel:DWORD src1_sel:WORD_1
	v_fma_f16 v22, v94, v0, v22
	v_mul_f16_sdwa v94, v95, v1 dst_sel:DWORD dst_unused:UNUSED_PAD src0_sel:DWORD src1_sel:WORD_1
	v_fma_f16 v94, v17, v1, -v94
	v_mul_f16_sdwa v17, v17, v1 dst_sel:DWORD dst_unused:UNUSED_PAD src0_sel:DWORD src1_sel:WORD_1
	v_fma_f16 v95, v95, v1, v17
	v_mul_f16_sdwa v17, v96, v2 dst_sel:DWORD dst_unused:UNUSED_PAD src0_sel:DWORD src1_sel:WORD_1
	v_fma_f16 v111, v18, v2, -v17
	v_mul_f16_sdwa v17, v18, v2 dst_sel:DWORD dst_unused:UNUSED_PAD src0_sel:DWORD src1_sel:WORD_1
	v_fma_f16 v96, v96, v2, v17
	v_mul_f16_sdwa v17, v97, v3 dst_sel:DWORD dst_unused:UNUSED_PAD src0_sel:DWORD src1_sel:WORD_1
	v_fma_f16 v112, v27, v3, -v17
	v_mul_f16_sdwa v17, v27, v3 dst_sel:DWORD dst_unused:UNUSED_PAD src0_sel:DWORD src1_sel:WORD_1
	v_fma_f16 v27, v97, v3, v17
	global_load_dwordx2 v[17:18], v[98:99], off offset:392
	v_add_f16_e32 v98, v26, v104
	v_sub_f16_e32 v99, v105, v110
	v_sub_f16_e32 v26, v26, v104
	v_add_f16_e32 v104, v106, v109
	v_sub_f16_e32 v106, v106, v109
	v_add_f16_e32 v109, v101, v102
	v_sub_f16_e32 v101, v102, v101
	s_waitcnt vmcnt(0)
	v_mul_f16_sdwa v97, v93, v17 dst_sel:DWORD dst_unused:UNUSED_PAD src0_sel:DWORD src1_sel:WORD_1
	v_fma_f16 v97, v28, v17, -v97
	v_mul_f16_sdwa v28, v28, v17 dst_sel:DWORD dst_unused:UNUSED_PAD src0_sel:DWORD src1_sel:WORD_1
	v_fma_f16 v28, v93, v17, v28
	v_mul_f16_sdwa v93, v91, v18 dst_sel:DWORD dst_unused:UNUSED_PAD src0_sel:DWORD src1_sel:WORD_1
	v_fma_f16 v93, v92, v18, -v93
	v_mul_f16_sdwa v92, v92, v18 dst_sel:DWORD dst_unused:UNUSED_PAD src0_sel:DWORD src1_sel:WORD_1
	v_fma_f16 v91, v91, v18, v92
	v_add_f16_e32 v92, v105, v110
	v_add_f16_e32 v105, v100, v103
	v_sub_f16_e32 v100, v100, v103
	v_add_f16_e32 v103, v107, v108
	v_sub_f16_e32 v107, v108, v107
	v_add_f16_e32 v102, v104, v92
	v_add_f16_e32 v108, v105, v98
	v_sub_f16_e32 v110, v104, v92
	v_sub_f16_e32 v113, v105, v98
	;; [unrolled: 1-line block ×6, first 2 shown]
	v_add_f16_e32 v114, v107, v106
	v_add_f16_e32 v115, v101, v100
	v_sub_f16_e32 v116, v107, v106
	v_sub_f16_e32 v117, v101, v100
	v_add_f16_e32 v102, v103, v102
	v_add_f16_e32 v103, v109, v108
	v_sub_f16_e32 v107, v99, v107
	v_sub_f16_e32 v101, v26, v101
	;; [unrolled: 1-line block ×4, first 2 shown]
	v_add_f16_e32 v99, v114, v99
	v_add_f16_e32 v26, v115, v26
	;; [unrolled: 1-line block ×3, first 2 shown]
	v_add_f16_sdwa v114, v25, v103 dst_sel:DWORD dst_unused:UNUSED_PAD src0_sel:WORD_1 src1_sel:DWORD
	v_mul_f16_e32 v25, 0x3a52, v92
	v_mul_f16_e32 v92, 0x3a52, v98
	;; [unrolled: 1-line block ×8, first 2 shown]
	v_fma_f16 v98, v110, s5, -v98
	v_fma_f16 v108, v113, s5, -v108
	s_mov_b32 s5, 0xb9e0
	v_fma_f16 v106, v106, s1, -v115
	v_fma_f16 v100, v100, s1, -v116
	s_mov_b32 s1, 0xb574
	v_fma_f16 v102, v102, s4, v109
	v_fma_f16 v103, v103, s4, v114
	;; [unrolled: 1-line block ×4, first 2 shown]
	v_fma_f16 v25, v110, s5, -v25
	v_fma_f16 v92, v113, s5, -v92
	v_fma_f16 v110, v107, s6, v115
	v_fma_f16 v113, v101, s6, v116
	v_fma_f16 v107, v107, s1, -v117
	v_fma_f16 v101, v101, s1, -v118
	v_add_f16_e32 v104, v104, v102
	v_add_f16_e32 v105, v105, v103
	;; [unrolled: 1-line block ×6, first 2 shown]
	v_fma_f16 v102, v99, s7, v110
	v_fma_f16 v103, v26, s7, v113
	;; [unrolled: 1-line block ×6, first 2 shown]
	v_add_f16_e32 v115, v26, v25
	v_sub_f16_e32 v116, v92, v99
	v_sub_f16_e32 v117, v98, v100
	v_add_f16_e32 v119, v100, v98
	v_sub_f16_e32 v121, v25, v26
	v_add_f16_e32 v122, v99, v92
	v_add_f16_e32 v25, v81, v93
	;; [unrolled: 1-line block ×3, first 2 shown]
	v_sub_f16_e32 v98, v81, v93
	v_add_f16_e32 v92, v94, v97
	v_add_f16_e32 v93, v95, v28
	v_sub_f16_e32 v22, v22, v91
	v_sub_f16_e32 v94, v94, v97
	v_sub_f16_e32 v28, v95, v28
	v_add_f16_e32 v95, v111, v112
	v_add_f16_e32 v97, v96, v27
	v_sub_f16_e32 v99, v112, v111
	v_sub_f16_e32 v27, v27, v96
	v_add_f16_e32 v96, v92, v25
	v_add_f16_e32 v100, v93, v26
	;; [unrolled: 1-line block ×3, first 2 shown]
	v_sub_f16_e32 v113, v105, v102
	v_add_f16_e32 v118, v106, v108
	v_sub_f16_e32 v120, v108, v106
	v_sub_f16_e32 v123, v104, v103
	v_add_f16_e32 v124, v102, v105
	v_sub_f16_e32 v81, v92, v25
	v_sub_f16_e32 v91, v93, v26
	v_sub_f16_e32 v25, v25, v95
	v_sub_f16_e32 v26, v26, v97
	v_add_f16_e32 v101, v99, v94
	v_add_f16_e32 v102, v27, v28
	v_sub_f16_e32 v103, v99, v94
	v_sub_f16_e32 v104, v27, v28
	v_sub_f16_e32 v94, v94, v98
	v_sub_f16_e32 v105, v28, v22
	v_add_f16_e32 v106, v95, v96
	;; [unrolled: 6-line block ×3, first 2 shown]
	v_add_f16_e32 v96, v102, v22
	v_add_f16_e32 v21, v21, v106
	;; [unrolled: 1-line block ×3, first 2 shown]
	v_mul_f16_e32 v22, 0x3a52, v25
	v_mul_f16_e32 v25, 0x3a52, v26
	;; [unrolled: 1-line block ×6, first 2 shown]
	v_pack_b32_f16 v109, v109, v114
	v_pack_b32_f16 v110, v110, v113
	v_fma_f16 v94, v106, s4, v21
	v_fma_f16 v103, v107, s4, v28
	;; [unrolled: 1-line block ×4, first 2 shown]
	v_fma_f16 v22, v81, s5, -v22
	v_fma_f16 v25, v91, s5, -v25
	v_fma_f16 v104, v99, s6, v97
	v_fma_f16 v105, v27, s6, v90
	v_fma_f16 v107, v99, s1, -v100
	v_fma_f16 v27, v27, s1, -v98
	ds_write2_b32 v30, v109, v110 offset1:96
	v_pack_b32_f16 v109, v115, v116
	v_pack_b32_f16 v110, v117, v118
	v_add_f16_e32 v99, v26, v94
	v_add_f16_e32 v101, v101, v103
	;; [unrolled: 1-line block ×4, first 2 shown]
	v_fma_f16 v104, v95, s7, v104
	v_fma_f16 v105, v96, s7, v105
	v_fma_f16 v107, v95, s7, v107
	v_fma_f16 v108, v96, s7, v27
	ds_write2_b32 v64, v109, v110 offset0:64 offset1:160
	v_pack_b32_f16 v64, v119, v120
	v_pack_b32_f16 v109, v121, v122
	v_sub_f16_e32 v22, v102, v108
	v_add_f16_e32 v25, v107, v106
	v_sub_f16_e32 v26, v99, v105
	v_add_f16_e32 v27, v104, v101
	ds_write2_b32 v61, v64, v109 offset0:128 offset1:224
	v_pack_b32_f16 v61, v123, v124
	ds_write_b32 v30, v61 offset:2304
	s_and_saveexec_b64 s[0:1], vcc
	s_cbranch_execz .LBB0_5
; %bb.4:
	v_mul_f16_e32 v61, 0x2b26, v92
	v_mul_f16_e32 v64, 0x2b26, v93
	;; [unrolled: 1-line block ×6, first 2 shown]
	v_sub_f16_e32 v64, v91, v64
	v_sub_f16_e32 v91, v100, v97
	;; [unrolled: 1-line block ×4, first 2 shown]
	v_add_f16_e32 v64, v64, v103
	v_add_f16_e32 v91, v92, v91
	;; [unrolled: 1-line block ×4, first 2 shown]
	v_sub_f16_e32 v93, v101, v104
	v_add_f16_e32 v94, v105, v99
	s_mov_b32 s4, 0x5040100
	v_sub_f16_e32 v92, v64, v91
	v_add_f16_e32 v81, v90, v61
	v_add_f16_e32 v64, v91, v64
	v_sub_f16_e32 v61, v61, v90
	v_sub_f16_e32 v90, v106, v107
	v_add_f16_e32 v91, v108, v102
	v_perm_b32 v21, v28, v21, s4
	v_pack_b32_f16 v28, v94, v93
	ds_write2_b32 v30, v21, v28 offset0:56 offset1:152
	v_pack_b32_f16 v21, v91, v90
	v_pack_b32_f16 v28, v61, v64
	v_add_u32_e32 v61, 0x200, v30
	ds_write2_b32 v61, v21, v28 offset0:120 offset1:216
	v_pack_b32_f16 v21, v81, v92
	v_perm_b32 v28, v25, v22, s4
	v_add_u32_e32 v61, 0x600, v30
	ds_write2_b32 v61, v21, v28 offset0:56 offset1:152
	v_perm_b32 v21, v27, v26, s4
	ds_write_b32 v30, v21 offset:2528
.LBB0_5:
	s_or_b64 exec, exec, s[0:1]
	s_waitcnt lgkmcnt(0)
	; wave barrier
	s_waitcnt lgkmcnt(0)
	global_load_dword v81, v[23:24], off offset:2688
	s_add_u32 s0, s12, 0xa80
	s_addc_u32 s1, s13, 0
	v_lshlrev_b32_e32 v64, 2, v41
	global_load_dword v90, v64, s[0:1] offset:224
	global_load_dword v98, v64, s[0:1] offset:1344
	;; [unrolled: 1-line block ×11, first 2 shown]
	ds_read2_b32 v[23:24], v30 offset1:56
	v_add_u32_e32 v28, 0x400, v30
	v_add_u32_e32 v61, 0x200, v30
	;; [unrolled: 1-line block ×4, first 2 shown]
	s_waitcnt lgkmcnt(0)
	v_lshrrev_b32_e32 v91, 16, v23
	v_lshrrev_b32_e32 v92, 16, v24
	s_mov_b32 s0, 0xbaee
	s_movk_i32 s1, 0x3aee
	s_waitcnt vmcnt(11)
	v_mul_f16_sdwa v93, v91, v81 dst_sel:DWORD dst_unused:UNUSED_PAD src0_sel:DWORD src1_sel:WORD_1
	v_mul_f16_sdwa v94, v23, v81 dst_sel:DWORD dst_unused:UNUSED_PAD src0_sel:DWORD src1_sel:WORD_1
	v_fma_f16 v23, v23, v81, -v93
	v_fma_f16 v81, v91, v81, v94
	v_pack_b32_f16 v23, v23, v81
	s_waitcnt vmcnt(10)
	v_mul_f16_sdwa v81, v92, v90 dst_sel:DWORD dst_unused:UNUSED_PAD src0_sel:DWORD src1_sel:WORD_1
	v_mul_f16_sdwa v91, v24, v90 dst_sel:DWORD dst_unused:UNUSED_PAD src0_sel:DWORD src1_sel:WORD_1
	ds_write_b32 v30, v23
	v_fma_f16 v81, v24, v90, -v81
	v_fma_f16 v90, v92, v90, v91
	ds_read2_b32 v[23:24], v28 offset0:80 offset1:136
	v_pack_b32_f16 v81, v81, v90
	ds_read2_b32 v[90:91], v30 offset0:112 offset1:168
	ds_read2_b32 v[92:93], v28 offset0:192 offset1:248
	;; [unrolled: 1-line block ×4, first 2 shown]
	s_waitcnt lgkmcnt(3)
	v_lshrrev_b32_e32 v112, 16, v90
	v_lshrrev_b32_e32 v108, 16, v23
	s_waitcnt vmcnt(9)
	v_mul_f16_sdwa v109, v23, v98 dst_sel:DWORD dst_unused:UNUSED_PAD src0_sel:DWORD src1_sel:WORD_1
	v_lshrrev_b32_e32 v110, 16, v24
	s_waitcnt vmcnt(8)
	v_mul_f16_sdwa v111, v24, v99 dst_sel:DWORD dst_unused:UNUSED_PAD src0_sel:DWORD src1_sel:WORD_1
	s_waitcnt vmcnt(7)
	v_mul_f16_sdwa v113, v90, v100 dst_sel:DWORD dst_unused:UNUSED_PAD src0_sel:DWORD src1_sel:WORD_1
	s_waitcnt lgkmcnt(2)
	v_lshrrev_b32_e32 v114, 16, v92
	s_waitcnt vmcnt(6)
	v_mul_f16_sdwa v115, v92, v101 dst_sel:DWORD dst_unused:UNUSED_PAD src0_sel:DWORD src1_sel:WORD_1
	v_lshrrev_b32_e32 v116, 16, v91
	s_waitcnt vmcnt(5)
	v_mul_f16_sdwa v117, v91, v102 dst_sel:DWORD dst_unused:UNUSED_PAD src0_sel:DWORD src1_sel:WORD_1
	v_lshrrev_b32_e32 v118, 16, v93
	s_waitcnt vmcnt(4)
	v_mul_f16_sdwa v119, v93, v103 dst_sel:DWORD dst_unused:UNUSED_PAD src0_sel:DWORD src1_sel:WORD_1
	s_waitcnt lgkmcnt(1)
	v_lshrrev_b32_e32 v120, 16, v94
	s_waitcnt vmcnt(3)
	v_mul_f16_sdwa v121, v94, v104 dst_sel:DWORD dst_unused:UNUSED_PAD src0_sel:DWORD src1_sel:WORD_1
	s_waitcnt lgkmcnt(0)
	v_lshrrev_b32_e32 v122, 16, v96
	v_mul_f16_sdwa v125, v108, v98 dst_sel:DWORD dst_unused:UNUSED_PAD src0_sel:DWORD src1_sel:WORD_1
	v_fma_f16 v108, v108, v98, v109
	v_mul_f16_sdwa v109, v110, v99 dst_sel:DWORD dst_unused:UNUSED_PAD src0_sel:DWORD src1_sel:WORD_1
	v_fma_f16 v110, v110, v99, v111
	v_mul_f16_sdwa v111, v112, v100 dst_sel:DWORD dst_unused:UNUSED_PAD src0_sel:DWORD src1_sel:WORD_1
	s_waitcnt vmcnt(2)
	v_mul_f16_sdwa v123, v96, v105 dst_sel:DWORD dst_unused:UNUSED_PAD src0_sel:DWORD src1_sel:WORD_1
	v_fma_f16 v112, v112, v100, v113
	v_mul_f16_sdwa v113, v114, v101 dst_sel:DWORD dst_unused:UNUSED_PAD src0_sel:DWORD src1_sel:WORD_1
	v_fma_f16 v114, v114, v101, v115
	;; [unrolled: 2-line block ×5, first 2 shown]
	v_mul_f16_sdwa v121, v122, v105 dst_sel:DWORD dst_unused:UNUSED_PAD src0_sel:DWORD src1_sel:WORD_1
	v_fma_f16 v90, v90, v100, -v111
	v_lshrrev_b32_e32 v124, 16, v95
	v_fma_f16 v122, v122, v105, v123
	v_fma_f16 v24, v24, v99, -v109
	v_fma_f16 v92, v92, v101, -v113
	;; [unrolled: 1-line block ×6, first 2 shown]
	v_pack_b32_f16 v90, v90, v112
	s_waitcnt vmcnt(1)
	v_mul_f16_sdwa v123, v124, v106 dst_sel:DWORD dst_unused:UNUSED_PAD src0_sel:DWORD src1_sel:WORD_1
	v_pack_b32_f16 v24, v24, v110
	v_pack_b32_f16 v92, v92, v114
	;; [unrolled: 1-line block ×6, first 2 shown]
	ds_write2_b32 v30, v81, v90 offset0:56 offset1:112
	ds_write2_b32 v28, v24, v92 offset0:136 offset1:192
	;; [unrolled: 1-line block ×4, first 2 shown]
	v_mul_f16_sdwa v81, v95, v106 dst_sel:DWORD dst_unused:UNUSED_PAD src0_sel:DWORD src1_sel:WORD_1
	v_fma_f16 v23, v23, v98, -v125
	v_fma_f16 v24, v95, v106, -v123
	v_fma_f16 v81, v124, v106, v81
	v_pack_b32_f16 v23, v23, v108
	v_pack_b32_f16 v24, v24, v81
	ds_write2_b32 v28, v24, v23 offset0:24 offset1:80
	v_lshrrev_b32_e32 v23, 16, v97
	s_waitcnt vmcnt(0)
	v_mul_f16_sdwa v24, v23, v107 dst_sel:DWORD dst_unused:UNUSED_PAD src0_sel:DWORD src1_sel:WORD_1
	v_mul_f16_sdwa v81, v97, v107 dst_sel:DWORD dst_unused:UNUSED_PAD src0_sel:DWORD src1_sel:WORD_1
	v_fma_f16 v24, v97, v107, -v24
	v_fma_f16 v23, v23, v107, v81
	v_pack_b32_f16 v23, v24, v23
	ds_write_b32 v30, v23 offset:2464
	s_waitcnt lgkmcnt(0)
	; wave barrier
	s_waitcnt lgkmcnt(0)
	ds_read2_b32 v[23:24], v30 offset1:56
	ds_read2_b32 v[90:91], v28 offset0:80 offset1:136
	ds_read2_b32 v[94:95], v30 offset0:112 offset1:168
	;; [unrolled: 1-line block ×3, first 2 shown]
	s_waitcnt lgkmcnt(2)
	v_pk_add_f16 v93, v23, v90 neg_lo:[0,1] neg_hi:[0,1]
	v_pk_add_f16 v91, v24, v91 neg_lo:[0,1] neg_hi:[0,1]
	v_pk_fma_f16 v92, v23, 2.0, v93 op_sel_hi:[1,0,1] neg_lo:[0,0,1] neg_hi:[0,0,1]
	v_pk_fma_f16 v90, v24, 2.0, v91 op_sel_hi:[1,0,1] neg_lo:[0,0,1] neg_hi:[0,0,1]
	ds_read2_b32 v[23:24], v61 offset0:96 offset1:152
	ds_read2_b32 v[98:99], v21 offset0:48 offset1:104
	s_waitcnt lgkmcnt(2)
	v_pk_add_f16 v101, v94, v96 neg_lo:[0,1] neg_hi:[0,1]
	v_pk_add_f16 v96, v95, v97 neg_lo:[0,1] neg_hi:[0,1]
	v_pk_fma_f16 v100, v94, 2.0, v101 op_sel_hi:[1,0,1] neg_lo:[0,0,1] neg_hi:[0,0,1]
	v_pk_fma_f16 v95, v95, 2.0, v96 op_sel_hi:[1,0,1] neg_lo:[0,0,1] neg_hi:[0,0,1]
	s_waitcnt lgkmcnt(0)
	v_pk_add_f16 v98, v23, v98 neg_lo:[0,1] neg_hi:[0,1]
	v_pk_add_f16 v103, v24, v99 neg_lo:[0,1] neg_hi:[0,1]
	v_pk_fma_f16 v97, v23, 2.0, v98 op_sel_hi:[1,0,1] neg_lo:[0,0,1] neg_hi:[0,0,1]
	v_pk_fma_f16 v102, v24, 2.0, v103 op_sel_hi:[1,0,1] neg_lo:[0,0,1] neg_hi:[0,0,1]
	s_waitcnt lgkmcnt(0)
	; wave barrier
	ds_write_b64 v45, v[92:93]
	ds_write_b64 v46, v[90:91]
	ds_write_b64 v89, v[100:101]
	ds_write_b64 v88, v[95:96]
	ds_write_b64 v87, v[97:98]
	ds_write_b64 v86, v[102:103]
	s_waitcnt lgkmcnt(0)
	; wave barrier
	s_waitcnt lgkmcnt(0)
	ds_read2_b32 v[23:24], v30 offset1:56
	ds_read2_b32 v[45:46], v28 offset0:80 offset1:136
	ds_read2_b32 v[88:89], v28 offset0:192 offset1:248
	;; [unrolled: 1-line block ×5, first 2 shown]
	s_waitcnt lgkmcnt(5)
	v_lshrrev_b32_e32 v81, 16, v23
	s_waitcnt lgkmcnt(4)
	v_lshrrev_b32_e32 v94, 16, v45
	v_mul_f16_sdwa v105, v44, v94 dst_sel:DWORD dst_unused:UNUSED_PAD src0_sel:WORD_1 src1_sel:DWORD
	v_lshrrev_b32_e32 v96, 16, v46
	v_fma_f16 v105, v44, v45, v105
	v_mul_f16_sdwa v45, v44, v45 dst_sel:DWORD dst_unused:UNUSED_PAD src0_sel:WORD_1 src1_sel:DWORD
	v_fma_f16 v45, v44, v94, -v45
	v_mul_f16_sdwa v94, v44, v96 dst_sel:DWORD dst_unused:UNUSED_PAD src0_sel:WORD_1 src1_sel:DWORD
	s_waitcnt lgkmcnt(3)
	v_lshrrev_b32_e32 v98, 16, v88
	v_fma_f16 v94, v44, v46, v94
	v_mul_f16_sdwa v46, v44, v46 dst_sel:DWORD dst_unused:UNUSED_PAD src0_sel:WORD_1 src1_sel:DWORD
	v_fma_f16 v46, v44, v96, -v46
	v_mul_f16_sdwa v96, v44, v98 dst_sel:DWORD dst_unused:UNUSED_PAD src0_sel:WORD_1 src1_sel:DWORD
	v_lshrrev_b32_e32 v100, 16, v89
	v_fma_f16 v96, v44, v88, v96
	v_mul_f16_sdwa v88, v44, v88 dst_sel:DWORD dst_unused:UNUSED_PAD src0_sel:WORD_1 src1_sel:DWORD
	v_fma_f16 v88, v44, v98, -v88
	v_mul_f16_sdwa v98, v44, v100 dst_sel:DWORD dst_unused:UNUSED_PAD src0_sel:WORD_1 src1_sel:DWORD
	s_waitcnt lgkmcnt(0)
	v_lshrrev_b32_e32 v102, 16, v92
	v_fma_f16 v98, v44, v89, v98
	v_mul_f16_sdwa v89, v44, v89 dst_sel:DWORD dst_unused:UNUSED_PAD src0_sel:WORD_1 src1_sel:DWORD
	v_fma_f16 v89, v44, v100, -v89
	v_mul_f16_sdwa v100, v44, v102 dst_sel:DWORD dst_unused:UNUSED_PAD src0_sel:WORD_1 src1_sel:DWORD
	v_lshrrev_b32_e32 v104, 16, v93
	v_fma_f16 v100, v44, v92, v100
	v_mul_f16_sdwa v92, v44, v92 dst_sel:DWORD dst_unused:UNUSED_PAD src0_sel:WORD_1 src1_sel:DWORD
	v_fma_f16 v92, v44, v102, -v92
	v_mul_f16_sdwa v102, v44, v104 dst_sel:DWORD dst_unused:UNUSED_PAD src0_sel:WORD_1 src1_sel:DWORD
	v_fma_f16 v102, v44, v93, v102
	v_mul_f16_sdwa v93, v44, v93 dst_sel:DWORD dst_unused:UNUSED_PAD src0_sel:WORD_1 src1_sel:DWORD
	v_lshrrev_b32_e32 v95, 16, v24
	v_fma_f16 v44, v44, v104, -v93
	v_sub_f16_e32 v93, v23, v105
	v_sub_f16_e32 v45, v81, v45
	v_lshrrev_b32_e32 v97, 16, v86
	v_fma_f16 v23, v23, 2.0, -v93
	v_fma_f16 v81, v81, 2.0, -v45
	v_sub_f16_e32 v94, v24, v94
	v_sub_f16_e32 v46, v95, v46
	v_lshrrev_b32_e32 v99, 16, v87
	v_fma_f16 v24, v24, 2.0, -v94
	v_fma_f16 v95, v95, 2.0, -v46
	v_sub_f16_e32 v96, v86, v96
	v_sub_f16_e32 v88, v97, v88
	v_pack_b32_f16 v23, v23, v81
	v_pack_b32_f16 v45, v93, v45
	v_lshrrev_b32_e32 v101, 16, v90
	v_fma_f16 v86, v86, 2.0, -v96
	v_fma_f16 v97, v97, 2.0, -v88
	v_sub_f16_e32 v98, v87, v98
	v_sub_f16_e32 v89, v99, v89
	s_waitcnt lgkmcnt(0)
	; wave barrier
	ds_write2_b32 v47, v23, v45 offset1:2
	v_pack_b32_f16 v23, v24, v95
	v_pack_b32_f16 v24, v94, v46
	v_lshrrev_b32_e32 v103, 16, v91
	v_fma_f16 v87, v87, 2.0, -v98
	v_fma_f16 v99, v99, 2.0, -v89
	v_sub_f16_e32 v100, v90, v100
	v_sub_f16_e32 v92, v101, v92
	ds_write2_b32 v48, v23, v24 offset1:2
	v_pack_b32_f16 v23, v86, v97
	v_pack_b32_f16 v24, v96, v88
	v_fma_f16 v90, v90, 2.0, -v100
	v_fma_f16 v101, v101, 2.0, -v92
	v_sub_f16_e32 v102, v91, v102
	v_sub_f16_e32 v44, v103, v44
	ds_write2_b32 v49, v23, v24 offset1:2
	v_pack_b32_f16 v23, v87, v99
	v_pack_b32_f16 v24, v98, v89
	v_fma_f16 v91, v91, 2.0, -v102
	v_fma_f16 v103, v103, 2.0, -v44
	ds_write2_b32 v50, v23, v24 offset1:2
	v_pack_b32_f16 v23, v90, v101
	v_pack_b32_f16 v24, v100, v92
	ds_write2_b32 v52, v23, v24 offset1:2
	v_pack_b32_f16 v23, v91, v103
	v_pack_b32_f16 v24, v102, v44
	ds_write2_b32 v53, v23, v24 offset1:2
	s_waitcnt lgkmcnt(0)
	; wave barrier
	s_waitcnt lgkmcnt(0)
	ds_read2_b32 v[23:24], v30 offset1:56
	ds_read2_b32 v[44:45], v28 offset0:80 offset1:136
	ds_read2_b32 v[48:49], v28 offset0:192 offset1:248
	;; [unrolled: 1-line block ×5, first 2 shown]
	s_waitcnt lgkmcnt(5)
	v_lshrrev_b32_e32 v50, 16, v23
	s_waitcnt lgkmcnt(4)
	v_lshrrev_b32_e32 v81, 16, v44
	v_mul_f16_sdwa v98, v51, v81 dst_sel:DWORD dst_unused:UNUSED_PAD src0_sel:WORD_1 src1_sel:DWORD
	v_lshrrev_b32_e32 v89, 16, v45
	v_fma_f16 v98, v51, v44, v98
	v_mul_f16_sdwa v44, v51, v44 dst_sel:DWORD dst_unused:UNUSED_PAD src0_sel:WORD_1 src1_sel:DWORD
	v_fma_f16 v44, v51, v81, -v44
	v_mul_f16_sdwa v81, v51, v89 dst_sel:DWORD dst_unused:UNUSED_PAD src0_sel:WORD_1 src1_sel:DWORD
	s_waitcnt lgkmcnt(3)
	v_lshrrev_b32_e32 v91, 16, v48
	v_fma_f16 v81, v51, v45, v81
	v_mul_f16_sdwa v45, v51, v45 dst_sel:DWORD dst_unused:UNUSED_PAD src0_sel:WORD_1 src1_sel:DWORD
	v_fma_f16 v45, v51, v89, -v45
	v_mul_f16_sdwa v89, v51, v91 dst_sel:DWORD dst_unused:UNUSED_PAD src0_sel:WORD_1 src1_sel:DWORD
	v_lshrrev_b32_e32 v93, 16, v49
	v_fma_f16 v89, v51, v48, v89
	v_mul_f16_sdwa v48, v51, v48 dst_sel:DWORD dst_unused:UNUSED_PAD src0_sel:WORD_1 src1_sel:DWORD
	v_fma_f16 v48, v51, v91, -v48
	v_mul_f16_sdwa v91, v51, v93 dst_sel:DWORD dst_unused:UNUSED_PAD src0_sel:WORD_1 src1_sel:DWORD
	s_waitcnt lgkmcnt(0)
	v_lshrrev_b32_e32 v95, 16, v86
	v_fma_f16 v91, v51, v49, v91
	v_mul_f16_sdwa v49, v51, v49 dst_sel:DWORD dst_unused:UNUSED_PAD src0_sel:WORD_1 src1_sel:DWORD
	v_fma_f16 v49, v51, v93, -v49
	v_mul_f16_sdwa v93, v51, v95 dst_sel:DWORD dst_unused:UNUSED_PAD src0_sel:WORD_1 src1_sel:DWORD
	v_lshrrev_b32_e32 v97, 16, v87
	v_fma_f16 v93, v51, v86, v93
	v_mul_f16_sdwa v86, v51, v86 dst_sel:DWORD dst_unused:UNUSED_PAD src0_sel:WORD_1 src1_sel:DWORD
	v_fma_f16 v86, v51, v95, -v86
	v_mul_f16_sdwa v95, v51, v97 dst_sel:DWORD dst_unused:UNUSED_PAD src0_sel:WORD_1 src1_sel:DWORD
	v_fma_f16 v95, v51, v87, v95
	v_mul_f16_sdwa v87, v51, v87 dst_sel:DWORD dst_unused:UNUSED_PAD src0_sel:WORD_1 src1_sel:DWORD
	v_lshrrev_b32_e32 v88, 16, v24
	v_fma_f16 v51, v51, v97, -v87
	v_sub_f16_e32 v87, v23, v98
	v_sub_f16_e32 v44, v50, v44
	v_lshrrev_b32_e32 v90, 16, v46
	v_fma_f16 v23, v23, 2.0, -v87
	v_fma_f16 v50, v50, 2.0, -v44
	v_sub_f16_e32 v81, v24, v81
	v_sub_f16_e32 v45, v88, v45
	v_lshrrev_b32_e32 v92, 16, v47
	v_fma_f16 v24, v24, 2.0, -v81
	v_fma_f16 v88, v88, 2.0, -v45
	v_sub_f16_e32 v89, v46, v89
	v_sub_f16_e32 v48, v90, v48
	v_pack_b32_f16 v23, v23, v50
	v_pack_b32_f16 v44, v87, v44
	v_lshrrev_b32_e32 v94, 16, v52
	v_fma_f16 v46, v46, 2.0, -v89
	v_fma_f16 v90, v90, 2.0, -v48
	v_sub_f16_e32 v91, v47, v91
	v_sub_f16_e32 v49, v92, v49
	s_waitcnt lgkmcnt(0)
	; wave barrier
	ds_write2_b32 v54, v23, v44 offset1:4
	v_pack_b32_f16 v23, v24, v88
	v_pack_b32_f16 v24, v81, v45
	v_lshrrev_b32_e32 v96, 16, v53
	v_fma_f16 v47, v47, 2.0, -v91
	v_fma_f16 v92, v92, 2.0, -v49
	v_sub_f16_e32 v93, v52, v93
	v_sub_f16_e32 v86, v94, v86
	ds_write2_b32 v55, v23, v24 offset1:4
	v_pack_b32_f16 v23, v46, v90
	v_pack_b32_f16 v24, v89, v48
	v_fma_f16 v52, v52, 2.0, -v93
	v_fma_f16 v94, v94, 2.0, -v86
	v_sub_f16_e32 v95, v53, v95
	v_sub_f16_e32 v51, v96, v51
	ds_write2_b32 v56, v23, v24 offset1:4
	v_pack_b32_f16 v23, v47, v92
	v_pack_b32_f16 v24, v91, v49
	v_fma_f16 v53, v53, 2.0, -v95
	v_fma_f16 v96, v96, 2.0, -v51
	ds_write2_b32 v57, v23, v24 offset1:4
	v_pack_b32_f16 v23, v52, v94
	v_pack_b32_f16 v24, v93, v86
	ds_write2_b32 v59, v23, v24 offset1:4
	v_pack_b32_f16 v23, v53, v96
	v_pack_b32_f16 v24, v95, v51
	ds_write2_b32 v60, v23, v24 offset1:4
	s_waitcnt lgkmcnt(0)
	; wave barrier
	s_waitcnt lgkmcnt(0)
	ds_read2_b32 v[23:24], v30 offset1:56
	ds_read2_b32 v[44:45], v28 offset0:80 offset1:136
	ds_read2_b32 v[48:49], v28 offset0:192 offset1:248
	;; [unrolled: 1-line block ×5, first 2 shown]
	s_waitcnt lgkmcnt(5)
	v_lshrrev_b32_e32 v54, 16, v23
	s_waitcnt lgkmcnt(4)
	v_lshrrev_b32_e32 v55, 16, v44
	v_mul_f16_sdwa v91, v58, v55 dst_sel:DWORD dst_unused:UNUSED_PAD src0_sel:WORD_1 src1_sel:DWORD
	v_lshrrev_b32_e32 v57, 16, v45
	v_fma_f16 v91, v58, v44, v91
	v_mul_f16_sdwa v44, v58, v44 dst_sel:DWORD dst_unused:UNUSED_PAD src0_sel:WORD_1 src1_sel:DWORD
	v_fma_f16 v44, v58, v55, -v44
	v_mul_f16_sdwa v55, v58, v57 dst_sel:DWORD dst_unused:UNUSED_PAD src0_sel:WORD_1 src1_sel:DWORD
	s_waitcnt lgkmcnt(3)
	v_lshrrev_b32_e32 v60, 16, v48
	v_fma_f16 v55, v58, v45, v55
	v_mul_f16_sdwa v45, v58, v45 dst_sel:DWORD dst_unused:UNUSED_PAD src0_sel:WORD_1 src1_sel:DWORD
	v_fma_f16 v45, v58, v57, -v45
	v_mul_f16_sdwa v57, v58, v60 dst_sel:DWORD dst_unused:UNUSED_PAD src0_sel:WORD_1 src1_sel:DWORD
	v_lshrrev_b32_e32 v86, 16, v49
	v_fma_f16 v57, v58, v48, v57
	v_mul_f16_sdwa v48, v58, v48 dst_sel:DWORD dst_unused:UNUSED_PAD src0_sel:WORD_1 src1_sel:DWORD
	v_fma_f16 v48, v58, v60, -v48
	v_mul_f16_sdwa v60, v58, v86 dst_sel:DWORD dst_unused:UNUSED_PAD src0_sel:WORD_1 src1_sel:DWORD
	s_waitcnt lgkmcnt(0)
	v_lshrrev_b32_e32 v88, 16, v52
	v_fma_f16 v60, v58, v49, v60
	v_mul_f16_sdwa v49, v58, v49 dst_sel:DWORD dst_unused:UNUSED_PAD src0_sel:WORD_1 src1_sel:DWORD
	v_fma_f16 v49, v58, v86, -v49
	v_mul_f16_sdwa v86, v58, v88 dst_sel:DWORD dst_unused:UNUSED_PAD src0_sel:WORD_1 src1_sel:DWORD
	v_lshrrev_b32_e32 v90, 16, v53
	v_fma_f16 v86, v58, v52, v86
	v_mul_f16_sdwa v52, v58, v52 dst_sel:DWORD dst_unused:UNUSED_PAD src0_sel:WORD_1 src1_sel:DWORD
	v_fma_f16 v52, v58, v88, -v52
	v_mul_f16_sdwa v88, v58, v90 dst_sel:DWORD dst_unused:UNUSED_PAD src0_sel:WORD_1 src1_sel:DWORD
	v_fma_f16 v88, v58, v53, v88
	v_mul_f16_sdwa v53, v58, v53 dst_sel:DWORD dst_unused:UNUSED_PAD src0_sel:WORD_1 src1_sel:DWORD
	v_lshrrev_b32_e32 v56, 16, v24
	v_fma_f16 v53, v58, v90, -v53
	v_sub_f16_e32 v58, v23, v91
	v_sub_f16_e32 v44, v54, v44
	v_lshrrev_b32_e32 v59, 16, v46
	v_fma_f16 v23, v23, 2.0, -v58
	v_fma_f16 v54, v54, 2.0, -v44
	v_sub_f16_e32 v55, v24, v55
	v_sub_f16_e32 v45, v56, v45
	v_lshrrev_b32_e32 v81, 16, v47
	v_fma_f16 v24, v24, 2.0, -v55
	v_fma_f16 v56, v56, 2.0, -v45
	v_sub_f16_e32 v57, v46, v57
	v_sub_f16_e32 v48, v59, v48
	v_pack_b32_f16 v23, v23, v54
	v_pack_b32_f16 v44, v58, v44
	v_lshrrev_b32_e32 v87, 16, v50
	v_fma_f16 v46, v46, 2.0, -v57
	v_fma_f16 v59, v59, 2.0, -v48
	v_sub_f16_e32 v60, v47, v60
	v_sub_f16_e32 v49, v81, v49
	s_waitcnt lgkmcnt(0)
	; wave barrier
	ds_write2_b32 v62, v23, v44 offset1:8
	v_pack_b32_f16 v23, v24, v56
	v_pack_b32_f16 v24, v55, v45
	v_lshrrev_b32_e32 v89, 16, v51
	v_fma_f16 v47, v47, 2.0, -v60
	v_fma_f16 v81, v81, 2.0, -v49
	v_sub_f16_e32 v86, v50, v86
	v_sub_f16_e32 v52, v87, v52
	ds_write2_b32 v63, v23, v24 offset1:8
	v_pack_b32_f16 v23, v46, v59
	v_pack_b32_f16 v24, v57, v48
	v_fma_f16 v50, v50, 2.0, -v86
	v_fma_f16 v87, v87, 2.0, -v52
	v_sub_f16_e32 v88, v51, v88
	v_sub_f16_e32 v53, v89, v53
	ds_write2_b32 v65, v23, v24 offset1:8
	v_pack_b32_f16 v23, v47, v81
	v_pack_b32_f16 v24, v60, v49
	v_fma_f16 v51, v51, 2.0, -v88
	v_fma_f16 v89, v89, 2.0, -v53
	ds_write2_b32 v66, v23, v24 offset1:8
	v_pack_b32_f16 v23, v50, v87
	v_pack_b32_f16 v24, v86, v52
	ds_write2_b32 v68, v23, v24 offset1:8
	v_pack_b32_f16 v23, v51, v89
	v_pack_b32_f16 v24, v88, v53
	ds_write2_b32 v69, v23, v24 offset1:8
	s_waitcnt lgkmcnt(0)
	; wave barrier
	s_waitcnt lgkmcnt(0)
	ds_read2_b32 v[23:24], v30 offset1:56
	ds_read2_b32 v[44:45], v28 offset0:80 offset1:136
	ds_read2_b32 v[48:49], v28 offset0:192 offset1:248
	;; [unrolled: 1-line block ×5, first 2 shown]
	s_waitcnt lgkmcnt(5)
	v_lshrrev_b32_e32 v54, 16, v23
	s_waitcnt lgkmcnt(4)
	v_lshrrev_b32_e32 v55, 16, v44
	v_mul_f16_sdwa v69, v67, v55 dst_sel:DWORD dst_unused:UNUSED_PAD src0_sel:WORD_1 src1_sel:DWORD
	v_lshrrev_b32_e32 v57, 16, v45
	v_fma_f16 v69, v67, v44, v69
	v_mul_f16_sdwa v44, v67, v44 dst_sel:DWORD dst_unused:UNUSED_PAD src0_sel:WORD_1 src1_sel:DWORD
	v_fma_f16 v44, v67, v55, -v44
	v_mul_f16_sdwa v55, v71, v57 dst_sel:DWORD dst_unused:UNUSED_PAD src0_sel:WORD_1 src1_sel:DWORD
	s_waitcnt lgkmcnt(3)
	v_lshrrev_b32_e32 v59, 16, v48
	v_fma_f16 v55, v76, v45, v55
	v_mul_f16_sdwa v45, v71, v45 dst_sel:DWORD dst_unused:UNUSED_PAD src0_sel:WORD_1 src1_sel:DWORD
	v_fma_f16 v45, v76, v57, -v45
	v_mul_f16_sdwa v57, v67, v59 dst_sel:DWORD dst_unused:UNUSED_PAD src0_sel:WORD_1 src1_sel:DWORD
	v_lshrrev_b32_e32 v62, 16, v49
	v_fma_f16 v57, v67, v48, v57
	v_mul_f16_sdwa v48, v67, v48 dst_sel:DWORD dst_unused:UNUSED_PAD src0_sel:WORD_1 src1_sel:DWORD
	v_fma_f16 v48, v67, v59, -v48
	v_mul_f16_e32 v59, v74, v62
	s_waitcnt lgkmcnt(0)
	v_lshrrev_b32_e32 v65, 16, v52
	v_fma_f16 v59, v73, v49, v59
	v_mul_f16_e32 v49, v74, v49
	v_fma_f16 v49, v73, v62, -v49
	v_mul_f16_sdwa v62, v67, v65 dst_sel:DWORD dst_unused:UNUSED_PAD src0_sel:WORD_1 src1_sel:DWORD
	v_fma_f16 v62, v67, v52, v62
	v_mul_f16_sdwa v52, v67, v52 dst_sel:DWORD dst_unused:UNUSED_PAD src0_sel:WORD_1 src1_sel:DWORD
	v_lshrrev_b32_e32 v56, 16, v24
	v_fma_f16 v52, v67, v65, -v52
	v_sub_f16_e32 v67, v23, v69
	v_sub_f16_e32 v44, v54, v44
	v_lshrrev_b32_e32 v58, 16, v46
	v_lshrrev_b32_e32 v68, 16, v53
	v_fma_f16 v23, v23, 2.0, -v67
	v_fma_f16 v54, v54, 2.0, -v44
	v_sub_f16_e32 v55, v24, v55
	v_sub_f16_e32 v45, v56, v45
	v_lshrrev_b32_e32 v60, 16, v47
	v_mul_f16_e32 v65, v70, v68
	v_fma_f16 v24, v24, 2.0, -v55
	v_fma_f16 v56, v56, 2.0, -v45
	v_sub_f16_e32 v57, v46, v57
	v_sub_f16_e32 v48, v58, v48
	v_pack_b32_f16 v23, v23, v54
	v_pack_b32_f16 v44, v67, v44
	v_lshrrev_b32_e32 v63, 16, v50
	v_fma_f16 v65, v71, v53, v65
	v_mul_f16_e32 v53, v70, v53
	v_fma_f16 v46, v46, 2.0, -v57
	v_fma_f16 v58, v58, 2.0, -v48
	v_sub_f16_e32 v59, v47, v59
	v_sub_f16_e32 v49, v60, v49
	s_waitcnt lgkmcnt(0)
	; wave barrier
	ds_write2_b32 v72, v23, v44 offset1:16
	v_pack_b32_f16 v23, v24, v56
	v_pack_b32_f16 v24, v55, v45
	v_lshrrev_b32_e32 v66, 16, v51
	v_fma_f16 v53, v71, v68, -v53
	v_fma_f16 v47, v47, 2.0, -v59
	v_fma_f16 v60, v60, 2.0, -v49
	v_sub_f16_e32 v62, v50, v62
	v_sub_f16_e32 v52, v63, v52
	ds_write2_b32 v75, v23, v24 offset1:16
	v_pack_b32_f16 v23, v46, v58
	v_pack_b32_f16 v24, v57, v48
	v_fma_f16 v50, v50, 2.0, -v62
	v_fma_f16 v63, v63, 2.0, -v52
	v_sub_f16_e32 v65, v51, v65
	v_sub_f16_e32 v53, v66, v53
	ds_write2_b32 v77, v23, v24 offset1:16
	v_pack_b32_f16 v23, v47, v60
	v_pack_b32_f16 v24, v59, v49
	v_fma_f16 v51, v51, 2.0, -v65
	v_fma_f16 v66, v66, 2.0, -v53
	ds_write2_b32 v78, v23, v24 offset1:16
	v_pack_b32_f16 v23, v50, v63
	v_pack_b32_f16 v24, v62, v52
	ds_write2_b32 v79, v23, v24 offset1:16
	v_pack_b32_f16 v23, v51, v66
	v_pack_b32_f16 v24, v65, v53
	ds_write2_b32 v80, v23, v24 offset1:16
	s_waitcnt lgkmcnt(0)
	; wave barrier
	s_waitcnt lgkmcnt(0)
	ds_read2_b32 v[23:24], v30 offset1:56
	ds_read2_b32 v[44:45], v61 offset0:96 offset1:152
	ds_read2_b32 v[46:47], v28 offset0:192 offset1:248
	;; [unrolled: 1-line block ×5, first 2 shown]
	s_waitcnt lgkmcnt(0)
	v_lshrrev_b32_e32 v54, 16, v23
	v_lshrrev_b32_e32 v55, 16, v44
	v_mul_f16_sdwa v67, v11, v55 dst_sel:DWORD dst_unused:UNUSED_PAD src0_sel:WORD_1 src1_sel:DWORD
	v_lshrrev_b32_e32 v56, 16, v46
	v_fma_f16 v67, v11, v44, v67
	v_mul_f16_sdwa v44, v11, v44 dst_sel:DWORD dst_unused:UNUSED_PAD src0_sel:WORD_1 src1_sel:DWORD
	v_fma_f16 v11, v11, v55, -v44
	v_mul_f16_sdwa v44, v12, v56 dst_sel:DWORD dst_unused:UNUSED_PAD src0_sel:WORD_1 src1_sel:DWORD
	v_lshrrev_b32_e32 v21, 16, v45
	v_fma_f16 v44, v12, v46, v44
	v_mul_f16_sdwa v46, v12, v46 dst_sel:DWORD dst_unused:UNUSED_PAD src0_sel:WORD_1 src1_sel:DWORD
	v_fma_f16 v12, v12, v56, -v46
	v_mul_f16_sdwa v46, v15, v21 dst_sel:DWORD dst_unused:UNUSED_PAD src0_sel:WORD_1 src1_sel:DWORD
	v_lshrrev_b32_e32 v58, 16, v47
	v_fma_f16 v46, v15, v45, v46
	v_mul_f16_sdwa v45, v15, v45 dst_sel:DWORD dst_unused:UNUSED_PAD src0_sel:WORD_1 src1_sel:DWORD
	v_lshrrev_b32_e32 v60, 16, v50
	v_fma_f16 v15, v15, v21, -v45
	v_mul_f16_sdwa v21, v16, v58 dst_sel:DWORD dst_unused:UNUSED_PAD src0_sel:WORD_1 src1_sel:DWORD
	v_mul_f16_sdwa v45, v16, v47 dst_sel:DWORD dst_unused:UNUSED_PAD src0_sel:WORD_1 src1_sel:DWORD
	v_lshrrev_b32_e32 v62, 16, v52
	v_fma_f16 v21, v16, v47, v21
	v_fma_f16 v16, v16, v58, -v45
	v_mul_f16_sdwa v45, v9, v60 dst_sel:DWORD dst_unused:UNUSED_PAD src0_sel:WORD_1 src1_sel:DWORD
	v_mul_f16_sdwa v47, v9, v50 dst_sel:DWORD dst_unused:UNUSED_PAD src0_sel:WORD_1 src1_sel:DWORD
	v_fma_f16 v45, v9, v50, v45
	v_fma_f16 v47, v9, v60, -v47
	v_mul_f16_sdwa v9, v10, v62 dst_sel:DWORD dst_unused:UNUSED_PAD src0_sel:WORD_1 src1_sel:DWORD
	v_lshrrev_b32_e32 v65, 16, v51
	v_fma_f16 v50, v10, v52, v9
	v_mul_f16_sdwa v9, v10, v52 dst_sel:DWORD dst_unused:UNUSED_PAD src0_sel:WORD_1 src1_sel:DWORD
	v_fma_f16 v52, v10, v62, -v9
	v_mul_f16_sdwa v9, v13, v65 dst_sel:DWORD dst_unused:UNUSED_PAD src0_sel:WORD_1 src1_sel:DWORD
	v_lshrrev_b32_e32 v66, 16, v53
	v_fma_f16 v55, v13, v51, v9
	v_mul_f16_sdwa v9, v13, v51 dst_sel:DWORD dst_unused:UNUSED_PAD src0_sel:WORD_1 src1_sel:DWORD
	v_fma_f16 v13, v13, v65, -v9
	v_mul_f16_sdwa v9, v14, v66 dst_sel:DWORD dst_unused:UNUSED_PAD src0_sel:WORD_1 src1_sel:DWORD
	v_fma_f16 v51, v14, v53, v9
	v_mul_f16_sdwa v9, v14, v53 dst_sel:DWORD dst_unused:UNUSED_PAD src0_sel:WORD_1 src1_sel:DWORD
	v_fma_f16 v14, v14, v66, -v9
	v_add_f16_e32 v9, v23, v67
	v_add_f16_e32 v53, v9, v44
	v_add_f16_e32 v9, v67, v44
	v_fma_f16 v9, v9, -0.5, v23
	v_sub_f16_e32 v10, v11, v12
	v_fma_f16 v23, v10, s0, v9
	v_fma_f16 v56, v10, s1, v9
	v_add_f16_e32 v9, v54, v11
	v_add_f16_e32 v58, v9, v12
	;; [unrolled: 1-line block ×3, first 2 shown]
	v_fma_f16 v9, v9, -0.5, v54
	v_sub_f16_e32 v10, v67, v44
	v_fma_f16 v54, v10, s1, v9
	v_fma_f16 v60, v10, s0, v9
	v_add_f16_e32 v9, v24, v46
	v_add_f16_e32 v62, v9, v21
	;; [unrolled: 1-line block ×3, first 2 shown]
	v_lshrrev_b32_e32 v57, 16, v24
	v_fma_f16 v9, v9, -0.5, v24
	v_sub_f16_e32 v10, v15, v16
	v_fma_f16 v24, v10, s0, v9
	v_fma_f16 v65, v10, s1, v9
	v_add_f16_e32 v9, v57, v15
	v_add_f16_e32 v66, v9, v16
	;; [unrolled: 1-line block ×3, first 2 shown]
	v_fma_f16 v9, v9, -0.5, v57
	v_sub_f16_e32 v10, v46, v21
	v_fma_f16 v15, v10, s1, v9
	v_fma_f16 v16, v10, s0, v9
	v_add_f16_e32 v9, v48, v45
	v_add_f16_e32 v57, v9, v50
	;; [unrolled: 1-line block ×3, first 2 shown]
	v_lshrrev_b32_e32 v59, 16, v48
	v_fma_f16 v10, v9, -0.5, v48
	v_sub_f16_e32 v11, v47, v52
	v_fma_f16 v9, v11, s0, v10
	v_fma_f16 v10, v11, s1, v10
	v_add_f16_e32 v11, v59, v47
	v_add_f16_e32 v67, v11, v52
	;; [unrolled: 1-line block ×3, first 2 shown]
	v_fma_f16 v11, v11, -0.5, v59
	v_sub_f16_e32 v12, v45, v50
	v_fma_f16 v44, v12, s1, v11
	v_fma_f16 v46, v12, s0, v11
	v_add_f16_e32 v12, v55, v51
	v_lshrrev_b32_e32 v63, 16, v49
	v_fma_f16 v21, v12, -0.5, v49
	v_sub_f16_e32 v45, v13, v14
	v_fma_f16 v12, v45, s0, v21
	v_fma_f16 v21, v45, s1, v21
	v_add_f16_e32 v45, v63, v13
	v_add_f16_e32 v13, v13, v14
	;; [unrolled: 1-line block ×3, first 2 shown]
	v_fma_f16 v13, v13, -0.5, v63
	v_sub_f16_e32 v14, v55, v51
	v_fma_f16 v48, v14, s1, v13
	v_fma_f16 v47, v14, s0, v13
	v_pack_b32_f16 v13, v53, v58
	v_pack_b32_f16 v14, v23, v54
	; wave barrier
	ds_write2_b32 v82, v13, v14 offset1:32
	v_pack_b32_f16 v13, v56, v60
	ds_write_b32 v82, v13 offset:256
	v_pack_b32_f16 v13, v62, v66
	v_pack_b32_f16 v14, v24, v15
	ds_write2_b32 v83, v13, v14 offset1:32
	v_pack_b32_f16 v13, v65, v16
	v_add_f16_e32 v11, v49, v55
	ds_write_b32 v83, v13 offset:256
	v_pack_b32_f16 v13, v57, v67
	v_pack_b32_f16 v14, v9, v44
	v_add_f16_e32 v11, v11, v51
	ds_write2_b32 v84, v13, v14 offset1:32
	v_pack_b32_f16 v13, v10, v46
	ds_write_b32 v84, v13 offset:256
	v_pack_b32_f16 v13, v11, v45
	v_pack_b32_f16 v14, v12, v48
	ds_write2_b32 v85, v13, v14 offset1:32
	v_pack_b32_f16 v13, v21, v47
	ds_write_b32 v85, v13 offset:256
	s_waitcnt lgkmcnt(0)
	; wave barrier
	s_waitcnt lgkmcnt(0)
	ds_read2_b32 v[13:14], v30 offset1:96
	ds_read2_b32 v[23:24], v61 offset0:64 offset1:160
	ds_read2_b32 v[15:16], v28 offset0:128 offset1:224
	ds_read_b32 v49, v30 offset:2304
	s_and_saveexec_b64 s[0:1], vcc
	s_cbranch_execz .LBB0_7
; %bb.6:
	ds_read2_b32 v[9:10], v30 offset0:56 offset1:152
	ds_read2_b32 v[11:12], v61 offset0:120 offset1:216
	;; [unrolled: 1-line block ×3, first 2 shown]
	ds_read_b32 v26, v30 offset:2528
	s_waitcnt lgkmcnt(3)
	v_lshrrev_b32_e32 v44, 16, v9
	v_lshrrev_b32_e32 v46, 16, v10
	s_waitcnt lgkmcnt(2)
	v_lshrrev_b32_e32 v45, 16, v11
	v_lshrrev_b32_e32 v48, 16, v12
	;; [unrolled: 3-line block ×3, first 2 shown]
	s_waitcnt lgkmcnt(0)
	v_lshrrev_b32_e32 v27, 16, v26
.LBB0_7:
	s_or_b64 exec, exec, s[0:1]
	s_waitcnt lgkmcnt(3)
	v_lshrrev_b32_e32 v50, 16, v14
	v_mul_f16_sdwa v56, v4, v50 dst_sel:DWORD dst_unused:UNUSED_PAD src0_sel:WORD_1 src1_sel:DWORD
	s_waitcnt lgkmcnt(2)
	v_lshrrev_b32_e32 v51, 16, v23
	v_fma_f16 v56, v4, v14, v56
	v_mul_f16_sdwa v14, v4, v14 dst_sel:DWORD dst_unused:UNUSED_PAD src0_sel:WORD_1 src1_sel:DWORD
	v_fma_f16 v4, v4, v50, -v14
	v_mul_f16_sdwa v14, v5, v51 dst_sel:DWORD dst_unused:UNUSED_PAD src0_sel:WORD_1 src1_sel:DWORD
	v_lshrrev_b32_e32 v52, 16, v24
	v_fma_f16 v14, v5, v23, v14
	v_mul_f16_sdwa v23, v5, v23 dst_sel:DWORD dst_unused:UNUSED_PAD src0_sel:WORD_1 src1_sel:DWORD
	v_fma_f16 v5, v5, v51, -v23
	v_mul_f16_sdwa v23, v6, v52 dst_sel:DWORD dst_unused:UNUSED_PAD src0_sel:WORD_1 src1_sel:DWORD
	s_waitcnt lgkmcnt(1)
	v_lshrrev_b32_e32 v53, 16, v15
	v_fma_f16 v23, v6, v24, v23
	v_mul_f16_sdwa v24, v6, v24 dst_sel:DWORD dst_unused:UNUSED_PAD src0_sel:WORD_1 src1_sel:DWORD
	v_fma_f16 v6, v6, v52, -v24
	v_mul_f16_sdwa v24, v7, v53 dst_sel:DWORD dst_unused:UNUSED_PAD src0_sel:WORD_1 src1_sel:DWORD
	v_lshrrev_b32_e32 v54, 16, v16
	v_fma_f16 v24, v7, v15, v24
	v_mul_f16_sdwa v15, v7, v15 dst_sel:DWORD dst_unused:UNUSED_PAD src0_sel:WORD_1 src1_sel:DWORD
	v_fma_f16 v7, v7, v53, -v15
	v_mul_f16_sdwa v15, v19, v54 dst_sel:DWORD dst_unused:UNUSED_PAD src0_sel:WORD_1 src1_sel:DWORD
	s_waitcnt lgkmcnt(0)
	v_lshrrev_b32_e32 v55, 16, v49
	v_fma_f16 v15, v19, v16, v15
	v_mul_f16_sdwa v16, v19, v16 dst_sel:DWORD dst_unused:UNUSED_PAD src0_sel:WORD_1 src1_sel:DWORD
	v_fma_f16 v16, v19, v54, -v16
	v_mul_f16_sdwa v19, v20, v55 dst_sel:DWORD dst_unused:UNUSED_PAD src0_sel:WORD_1 src1_sel:DWORD
	v_fma_f16 v19, v20, v49, v19
	v_mul_f16_sdwa v49, v20, v49 dst_sel:DWORD dst_unused:UNUSED_PAD src0_sel:WORD_1 src1_sel:DWORD
	v_fma_f16 v20, v20, v55, -v49
	v_add_f16_e32 v49, v56, v19
	v_add_f16_e32 v50, v4, v20
	v_sub_f16_e32 v4, v4, v20
	v_add_f16_e32 v20, v14, v15
	v_add_f16_e32 v51, v5, v16
	v_sub_f16_e32 v19, v56, v19
	v_sub_f16_e32 v14, v14, v15
	;; [unrolled: 1-line block ×3, first 2 shown]
	v_add_f16_e32 v15, v23, v24
	v_add_f16_e32 v16, v6, v7
	v_sub_f16_e32 v23, v24, v23
	v_sub_f16_e32 v6, v7, v6
	v_add_f16_e32 v7, v20, v49
	v_add_f16_e32 v24, v51, v50
	v_sub_f16_e32 v52, v20, v49
	v_sub_f16_e32 v53, v51, v50
	;; [unrolled: 1-line block ×6, first 2 shown]
	v_add_f16_e32 v54, v23, v14
	v_add_f16_e32 v55, v6, v5
	v_sub_f16_e32 v56, v23, v14
	v_sub_f16_e32 v57, v6, v5
	;; [unrolled: 1-line block ×4, first 2 shown]
	v_add_f16_e32 v7, v15, v7
	v_add_f16_e32 v15, v16, v24
	v_sub_f16_e32 v23, v19, v23
	v_sub_f16_e32 v6, v4, v6
	v_add_f16_e32 v16, v54, v19
	v_add_f16_e32 v4, v55, v4
	;; [unrolled: 1-line block ×3, first 2 shown]
	v_add_f16_sdwa v13, v13, v15 dst_sel:DWORD dst_unused:UNUSED_PAD src0_sel:WORD_1 src1_sel:DWORD
	v_mul_f16_e32 v24, 0x3a52, v49
	v_mul_f16_e32 v49, 0x3a52, v50
	s_movk_i32 s13, 0x2b26
	v_mul_f16_e32 v50, 0x2b26, v20
	v_mul_f16_e32 v54, 0x2b26, v51
	;; [unrolled: 1-line block ×4, first 2 shown]
	s_mov_b32 s4, 0xbb00
	v_mul_f16_e32 v57, 0xbb00, v14
	v_mul_f16_e32 v58, 0xbb00, v5
	s_mov_b32 s14, 0xbcab
	s_movk_i32 s5, 0x39e0
	s_mov_b32 s6, 0xb9e0
	s_mov_b32 s15, 0xb574
	s_movk_i32 s7, 0x3574
	v_fma_f16 v7, v7, s14, v19
	v_fma_f16 v15, v15, s14, v13
	;; [unrolled: 1-line block ×4, first 2 shown]
	v_fma_f16 v50, v52, s5, -v50
	v_fma_f16 v54, v53, s5, -v54
	;; [unrolled: 1-line block ×4, first 2 shown]
	v_fma_f16 v52, v23, s15, v55
	v_fma_f16 v53, v6, s15, v56
	v_fma_f16 v14, v14, s4, -v55
	v_fma_f16 v5, v5, s4, -v56
	;; [unrolled: 1-line block ×4, first 2 shown]
	s_mov_b32 s12, 0xb70e
	v_add_f16_e32 v20, v20, v7
	v_add_f16_e32 v51, v51, v15
	;; [unrolled: 1-line block ×6, first 2 shown]
	v_fma_f16 v24, v16, s12, v52
	v_fma_f16 v49, v4, s12, v53
	;; [unrolled: 1-line block ×6, first 2 shown]
	v_add_f16_e32 v6, v49, v20
	v_sub_f16_e32 v23, v51, v24
	v_add_f16_e32 v52, v4, v7
	v_sub_f16_e32 v55, v50, v5
	v_add_f16_e32 v56, v14, v54
	v_add_f16_e32 v5, v5, v50
	v_sub_f16_e32 v14, v54, v14
	v_sub_f16_e32 v4, v7, v4
	v_add_f16_e32 v7, v16, v15
	v_sub_f16_e32 v53, v15, v16
	v_sub_f16_e32 v15, v20, v49
	v_add_f16_e32 v16, v24, v51
	v_pack_b32_f16 v13, v19, v13
	v_pack_b32_f16 v6, v6, v23
	;; [unrolled: 1-line block ×4, first 2 shown]
	ds_write2_b32 v30, v13, v6 offset1:96
	v_pack_b32_f16 v6, v52, v53
	v_pack_b32_f16 v13, v55, v56
	ds_write2_b32 v28, v5, v4 offset0:128 offset1:224
	v_pack_b32_f16 v4, v15, v16
	ds_write2_b32 v61, v6, v13 offset0:64 offset1:160
	ds_write_b32 v30, v4 offset:2304
	s_and_saveexec_b64 s[0:1], vcc
	s_cbranch_execz .LBB0_9
; %bb.8:
	v_mul_f16_sdwa v13, v2, v48 dst_sel:DWORD dst_unused:UNUSED_PAD src0_sel:WORD_1 src1_sel:DWORD
	v_mul_f16_sdwa v4, v0, v46 dst_sel:DWORD dst_unused:UNUSED_PAD src0_sel:WORD_1 src1_sel:DWORD
	;; [unrolled: 1-line block ×3, first 2 shown]
	v_fma_f16 v13, v2, v12, v13
	v_mul_f16_sdwa v16, v1, v45 dst_sel:DWORD dst_unused:UNUSED_PAD src0_sel:WORD_1 src1_sel:DWORD
	v_mul_f16_sdwa v19, v17, v25 dst_sel:DWORD dst_unused:UNUSED_PAD src0_sel:WORD_1 src1_sel:DWORD
	;; [unrolled: 1-line block ×3, first 2 shown]
	v_fma_f16 v4, v0, v10, v4
	v_fma_f16 v5, v18, v26, v5
	v_mul_f16_sdwa v7, v3, v47 dst_sel:DWORD dst_unused:UNUSED_PAD src0_sel:WORD_1 src1_sel:DWORD
	v_fma_f16 v16, v1, v11, v16
	v_fma_f16 v19, v17, v22, v19
	v_mul_f16_sdwa v26, v18, v26 dst_sel:DWORD dst_unused:UNUSED_PAD src0_sel:WORD_1 src1_sel:DWORD
	v_mul_f16_sdwa v10, v0, v10 dst_sel:DWORD dst_unused:UNUSED_PAD src0_sel:WORD_1 src1_sel:DWORD
	v_fma_f16 v2, v2, v48, -v12
	v_mul_f16_sdwa v12, v3, v21 dst_sel:DWORD dst_unused:UNUSED_PAD src0_sel:WORD_1 src1_sel:DWORD
	v_mul_f16_sdwa v22, v17, v22 dst_sel:DWORD dst_unused:UNUSED_PAD src0_sel:WORD_1 src1_sel:DWORD
	v_mul_f16_sdwa v11, v1, v11 dst_sel:DWORD dst_unused:UNUSED_PAD src0_sel:WORD_1 src1_sel:DWORD
	v_fma_f16 v7, v3, v21, v7
	v_fma_f16 v18, v18, v27, -v26
	v_fma_f16 v0, v0, v46, -v10
	;; [unrolled: 1-line block ×5, first 2 shown]
	v_add_f16_e32 v10, v18, v0
	v_add_f16_e32 v12, v3, v2
	;; [unrolled: 1-line block ×3, first 2 shown]
	v_sub_f16_e32 v0, v0, v18
	v_sub_f16_e32 v2, v3, v2
	;; [unrolled: 1-line block ×6, first 2 shown]
	v_add_f16_e32 v4, v5, v4
	v_add_f16_e32 v5, v7, v13
	;; [unrolled: 1-line block ×3, first 2 shown]
	v_sub_f16_e32 v3, v0, v2
	v_sub_f16_e32 v17, v2, v1
	v_add_f16_e32 v2, v2, v1
	v_sub_f16_e32 v15, v6, v14
	v_sub_f16_e32 v23, v14, v20
	v_add_f16_e32 v14, v14, v20
	v_add_f16_e32 v26, v11, v10
	v_add_f16_e32 v28, v13, v4
	v_add_f16_e32 v2, v2, v0
	v_sub_f16_e32 v0, v1, v0
	v_add_f16_e32 v14, v14, v6
	v_sub_f16_e32 v21, v10, v12
	v_sub_f16_e32 v22, v12, v11
	v_add_f16_e32 v12, v12, v26
	v_sub_f16_e32 v7, v4, v5
	v_sub_f16_e32 v16, v5, v13
	v_add_f16_e32 v5, v5, v28
	v_mul_f16_e32 v17, 0x3846, v17
	v_sub_f16_e32 v6, v20, v6
	v_mul_f16_e32 v1, 0xbb00, v0
	v_mul_f16_e32 v23, 0x3846, v23
	;; [unrolled: 1-line block ×4, first 2 shown]
	v_add_f16_e32 v26, v44, v12
	v_mul_f16_e32 v7, 0x3a52, v7
	v_mul_f16_e32 v19, 0x2b26, v16
	v_add_f16_e32 v9, v9, v5
	v_fma_f16 v18, v3, s15, v17
	v_mul_f16_e32 v20, 0xbb00, v6
	v_sub_f16_e32 v10, v11, v10
	v_sub_f16_e32 v4, v13, v4
	v_fma_f16 v1, v3, s7, -v1
	v_fma_f16 v0, v0, s4, -v17
	v_fma_f16 v24, v15, s15, v23
	v_fma_f16 v22, v22, s13, v21
	;; [unrolled: 1-line block ×6, first 2 shown]
	v_fma_f16 v15, v15, s7, -v20
	v_fma_f16 v11, v10, s6, -v21
	;; [unrolled: 1-line block ×3, first 2 shown]
	v_fma_f16 v1, v2, s12, v1
	v_fma_f16 v10, v10, s5, -v25
	v_fma_f16 v6, v6, s4, -v23
	v_fma_f16 v0, v2, s12, v0
	v_fma_f16 v2, v4, s5, -v19
	v_fma_f16 v24, v14, s12, v24
	v_add_f16_e32 v22, v22, v12
	v_add_f16_e32 v16, v16, v5
	v_fma_f16 v15, v14, s12, v15
	v_add_f16_e32 v11, v11, v12
	v_add_f16_e32 v7, v7, v5
	;; [unrolled: 1-line block ×3, first 2 shown]
	v_fma_f16 v6, v14, s12, v6
	v_add_f16_e32 v2, v2, v5
	v_sub_f16_e32 v3, v7, v1
	v_sub_f16_e32 v12, v10, v6
	v_add_f16_e32 v4, v0, v2
	v_add_f16_e32 v5, v6, v10
	v_sub_f16_e32 v0, v2, v0
	v_sub_f16_e32 v2, v11, v15
	v_add_f16_e32 v1, v1, v7
	v_sub_f16_e32 v6, v22, v24
	v_add_f16_e32 v7, v18, v16
	v_add_f16_e32 v20, v15, v11
	v_pack_b32_f16 v9, v9, v26
	v_pack_b32_f16 v6, v7, v6
	;; [unrolled: 1-line block ×4, first 2 shown]
	v_add_u32_e32 v2, 0x200, v30
	v_add_f16_e32 v27, v24, v22
	v_sub_f16_e32 v28, v16, v18
	ds_write2_b32 v30, v9, v6 offset0:56 offset1:152
	ds_write2_b32 v2, v1, v0 offset0:120 offset1:216
	v_pack_b32_f16 v0, v4, v12
	v_pack_b32_f16 v1, v3, v20
	v_add_u32_e32 v2, 0x600, v30
	ds_write2_b32 v2, v0, v1 offset0:56 offset1:152
	v_pack_b32_f16 v0, v28, v27
	ds_write_b32 v30, v0 offset:2528
.LBB0_9:
	s_or_b64 exec, exec, s[0:1]
	s_waitcnt lgkmcnt(0)
	; wave barrier
	s_waitcnt lgkmcnt(0)
	ds_read2_b32 v[2:3], v30 offset1:56
	s_mov_b32 s4, 0x18618618
	s_mov_b32 s5, 0x3f586186
	v_mad_u64_u32 v[4:5], s[0:1], s10, v8, 0
	s_waitcnt lgkmcnt(0)
	v_lshrrev_b32_e32 v7, 16, v2
	v_mul_f16_sdwa v0, v43, v7 dst_sel:DWORD dst_unused:UNUSED_PAD src0_sel:WORD_1 src1_sel:DWORD
	v_fma_f16 v0, v43, v2, v0
	v_cvt_f32_f16_e32 v0, v0
	s_movk_i32 s6, 0x1ff
	v_mad_u64_u32 v[5:6], s[0:1], s11, v8, v[5:6]
	v_cvt_f64_f32_e32 v[0:1], v0
	s_movk_i32 s7, 0xffe
	v_mul_f16_sdwa v2, v43, v2 dst_sel:DWORD dst_unused:UNUSED_PAD src0_sel:WORD_1 src1_sel:DWORD
	v_fma_f16 v2, v43, v7, -v2
	v_mul_f64 v[0:1], v[0:1], s[4:5]
	v_cvt_f32_f16_e32 v2, v2
	s_movk_i32 s10, 0x40f
	s_mov_b32 s11, 0x8000
	v_add_u32_e32 v13, 0x400, v30
	v_lshlrev_b64 v[4:5], 2, v[4:5]
	v_mov_b32_e32 v15, s3
	s_mul_i32 s3, s8, 0x540
	v_and_or_b32 v0, v1, s6, v0
	v_cmp_ne_u32_e32 vcc, 0, v0
	v_lshrrev_b32_e32 v6, 8, v1
	v_bfe_u32 v8, v1, 20, 11
	v_cndmask_b32_e64 v0, 0, 1, vcc
	v_sub_u32_e32 v9, 0x3f1, v8
	v_and_or_b32 v10, v6, s7, v0
	v_med3_i32 v0, v9, 0, 13
	v_or_b32_e32 v6, 0x1000, v10
	v_lshrrev_b32_e32 v9, v0, v6
	v_lshlrev_b32_e32 v0, v0, v9
	v_cmp_ne_u32_e32 vcc, v0, v6
	v_cndmask_b32_e64 v0, 0, 1, vcc
	v_add_u32_e32 v8, 0xfffffc10, v8
	v_or_b32_e32 v0, v9, v0
	v_lshl_or_b32 v6, v8, 12, v10
	v_cmp_gt_i32_e32 vcc, 1, v8
	v_cndmask_b32_e32 v0, v6, v0, vcc
	v_and_b32_e32 v6, 7, v0
	v_cmp_lt_i32_e32 vcc, 5, v6
	v_cmp_eq_u32_e64 s[0:1], 3, v6
	v_cvt_f64_f32_e32 v[6:7], v2
	v_lshrrev_b32_e32 v0, 2, v0
	s_or_b64 vcc, s[0:1], vcc
	v_addc_co_u32_e32 v9, vcc, 0, v0, vcc
	v_mul_f64 v[6:7], v[6:7], s[4:5]
	v_mov_b32_e32 v0, 0x7c00
	v_cmp_gt_i32_e32 vcc, 31, v8
	v_cndmask_b32_e32 v2, v0, v9, vcc
	v_cmp_ne_u32_e32 vcc, 0, v10
	v_cndmask_b32_e64 v9, 0, 1, vcc
	v_lshl_or_b32 v9, v9, 9, v0
	v_cmp_eq_u32_e32 vcc, s10, v8
	v_cndmask_b32_e32 v2, v2, v9, vcc
	v_lshrrev_b32_e32 v1, 16, v1
	v_and_or_b32 v12, v1, s11, v2
	v_and_or_b32 v1, v7, s6, v6
	v_cmp_ne_u32_e32 vcc, 0, v1
	v_cndmask_b32_e64 v1, 0, 1, vcc
	v_lshrrev_b32_e32 v2, 8, v7
	v_bfe_u32 v6, v7, 20, 11
	v_and_or_b32 v1, v2, s7, v1
	v_sub_u32_e32 v8, 0x3f1, v6
	v_or_b32_e32 v2, 0x1000, v1
	v_med3_i32 v8, v8, 0, 13
	v_lshrrev_b32_e32 v9, v8, v2
	v_lshlrev_b32_e32 v8, v8, v9
	v_cmp_ne_u32_e32 vcc, v8, v2
	v_cndmask_b32_e64 v2, 0, 1, vcc
	v_add_u32_e32 v6, 0xfffffc10, v6
	v_or_b32_e32 v2, v9, v2
	v_lshl_or_b32 v8, v6, 12, v1
	v_cmp_gt_i32_e32 vcc, 1, v6
	v_cndmask_b32_e32 v2, v8, v2, vcc
	v_and_b32_e32 v8, 7, v2
	v_cmp_lt_i32_e32 vcc, 5, v8
	v_cmp_eq_u32_e64 s[0:1], 3, v8
	v_lshrrev_b32_e32 v2, 2, v2
	s_or_b64 vcc, s[0:1], vcc
	v_addc_co_u32_e32 v2, vcc, 0, v2, vcc
	v_cmp_gt_i32_e32 vcc, 31, v6
	v_mad_u64_u32 v[8:9], s[0:1], s8, v41, 0
	ds_read2_b32 v[10:11], v13 offset0:80 offset1:136
	v_cndmask_b32_e32 v2, v0, v2, vcc
	v_cmp_ne_u32_e32 vcc, 0, v1
	v_cndmask_b32_e64 v1, 0, 1, vcc
	v_lshl_or_b32 v1, v1, 9, v0
	v_cmp_eq_u32_e32 vcc, s10, v6
	v_cndmask_b32_e32 v6, v2, v1, vcc
	v_mov_b32_e32 v1, v9
	v_mad_u64_u32 v[1:2], s[0:1], s9, v41, v[1:2]
	s_waitcnt lgkmcnt(0)
	v_lshrrev_b32_e32 v14, 16, v10
	v_mul_f16_sdwa v2, v42, v14 dst_sel:DWORD dst_unused:UNUSED_PAD src0_sel:WORD_1 src1_sel:DWORD
	v_fma_f16 v2, v42, v10, v2
	v_cvt_f32_f16_e32 v2, v2
	v_mov_b32_e32 v9, v1
	v_lshrrev_b32_e32 v7, 16, v7
	v_and_or_b32 v6, v7, s11, v6
	v_cvt_f64_f32_e32 v[1:2], v2
	v_and_b32_e32 v7, 0xffff, v12
	v_lshl_or_b32 v12, v6, 16, v7
	v_mul_f16_sdwa v10, v42, v10 dst_sel:DWORD dst_unused:UNUSED_PAD src0_sel:WORD_1 src1_sel:DWORD
	v_mul_f64 v[6:7], v[1:2], s[4:5]
	v_add_co_u32_e32 v1, vcc, s2, v4
	v_addc_co_u32_e32 v2, vcc, v15, v5, vcc
	v_lshlrev_b64 v[4:5], 2, v[8:9]
	v_fma_f16 v10, v42, v14, -v10
	v_add_co_u32_e32 v4, vcc, v1, v4
	v_addc_co_u32_e32 v5, vcc, v2, v5, vcc
	v_and_or_b32 v6, v7, s6, v6
	v_cmp_ne_u32_e32 vcc, 0, v6
	v_cndmask_b32_e64 v6, 0, 1, vcc
	v_lshrrev_b32_e32 v8, 8, v7
	v_bfe_u32 v9, v7, 20, 11
	global_store_dword v[4:5], v12, off
	v_and_or_b32 v6, v8, s7, v6
	v_sub_u32_e32 v12, 0x3f1, v9
	v_or_b32_e32 v8, 0x1000, v6
	v_med3_i32 v12, v12, 0, 13
	v_lshrrev_b32_e32 v15, v12, v8
	v_lshlrev_b32_e32 v12, v12, v15
	v_cmp_ne_u32_e32 vcc, v12, v8
	v_cndmask_b32_e64 v8, 0, 1, vcc
	v_add_u32_e32 v12, 0xfffffc10, v9
	v_cvt_f32_f16_e32 v10, v10
	v_or_b32_e32 v8, v15, v8
	v_lshl_or_b32 v9, v12, 12, v6
	v_cmp_gt_i32_e32 vcc, 1, v12
	v_cndmask_b32_e32 v8, v9, v8, vcc
	v_and_b32_e32 v9, 7, v8
	v_cmp_lt_i32_e32 vcc, 5, v9
	v_cmp_eq_u32_e64 s[0:1], 3, v9
	v_lshrrev_b32_e32 v14, 2, v8
	v_cvt_f64_f32_e32 v[8:9], v10
	s_or_b64 vcc, s[0:1], vcc
	v_addc_co_u32_e32 v10, vcc, 0, v14, vcc
	v_mul_f64 v[8:9], v[8:9], s[4:5]
	v_cmp_gt_i32_e32 vcc, 31, v12
	v_cndmask_b32_e32 v10, v0, v10, vcc
	v_cmp_ne_u32_e32 vcc, 0, v6
	v_cndmask_b32_e64 v6, 0, 1, vcc
	v_lshl_or_b32 v6, v6, 9, v0
	v_cmp_eq_u32_e32 vcc, s10, v12
	v_cndmask_b32_e32 v6, v10, v6, vcc
	v_lshrrev_b32_e32 v7, 16, v7
	v_and_or_b32 v6, v7, s11, v6
	v_and_or_b32 v7, v9, s6, v8
	v_cmp_ne_u32_e32 vcc, 0, v7
	v_cndmask_b32_e64 v7, 0, 1, vcc
	v_lshrrev_b32_e32 v8, 8, v9
	v_bfe_u32 v10, v9, 20, 11
	v_and_or_b32 v7, v8, s7, v7
	v_sub_u32_e32 v12, 0x3f1, v10
	v_or_b32_e32 v8, 0x1000, v7
	v_med3_i32 v12, v12, 0, 13
	v_lshrrev_b32_e32 v14, v12, v8
	v_lshlrev_b32_e32 v12, v12, v14
	v_cmp_ne_u32_e32 vcc, v12, v8
	v_cndmask_b32_e64 v8, 0, 1, vcc
	v_add_u32_e32 v10, 0xfffffc10, v10
	v_or_b32_e32 v8, v14, v8
	v_lshl_or_b32 v12, v10, 12, v7
	v_cmp_gt_i32_e32 vcc, 1, v10
	v_cndmask_b32_e32 v8, v12, v8, vcc
	v_and_b32_e32 v12, 7, v8
	v_cmp_lt_i32_e32 vcc, 5, v12
	v_cmp_eq_u32_e64 s[0:1], 3, v12
	v_lshrrev_b32_e32 v8, 2, v8
	s_or_b64 vcc, s[0:1], vcc
	v_addc_co_u32_e32 v8, vcc, 0, v8, vcc
	v_cmp_gt_i32_e32 vcc, 31, v10
	v_cndmask_b32_e32 v8, v0, v8, vcc
	v_cmp_ne_u32_e32 vcc, 0, v7
	v_cndmask_b32_e64 v7, 0, 1, vcc
	v_lshl_or_b32 v7, v7, 9, v0
	v_cmp_eq_u32_e32 vcc, s10, v10
	v_cndmask_b32_e32 v7, v8, v7, vcc
	v_lshrrev_b32_e32 v8, 16, v9
	v_lshrrev_b32_e32 v9, 16, v3
	v_mul_f16_sdwa v10, v40, v9 dst_sel:DWORD dst_unused:UNUSED_PAD src0_sel:WORD_1 src1_sel:DWORD
	v_fma_f16 v10, v40, v3, v10
	v_cvt_f32_f16_e32 v10, v10
	v_and_or_b32 v7, v8, s11, v7
	v_and_b32_e32 v6, 0xffff, v6
	v_lshl_or_b32 v8, v7, 16, v6
	v_cvt_f64_f32_e32 v[6:7], v10
	s_mul_i32 s0, s9, 0x540
	s_mul_hi_u32 s2, s8, 0x540
	s_add_i32 s2, s2, s0
	v_mul_f64 v[6:7], v[6:7], s[4:5]
	v_mov_b32_e32 v10, s2
	v_add_co_u32_e32 v4, vcc, s3, v4
	v_addc_co_u32_e32 v5, vcc, v5, v10, vcc
	global_store_dword v[4:5], v8, off
	v_mul_f16_sdwa v3, v40, v3 dst_sel:DWORD dst_unused:UNUSED_PAD src0_sel:WORD_1 src1_sel:DWORD
	v_and_or_b32 v6, v7, s6, v6
	v_cmp_ne_u32_e32 vcc, 0, v6
	v_cndmask_b32_e64 v6, 0, 1, vcc
	v_lshrrev_b32_e32 v8, 8, v7
	v_bfe_u32 v10, v7, 20, 11
	v_and_or_b32 v6, v8, s7, v6
	v_sub_u32_e32 v12, 0x3f1, v10
	v_or_b32_e32 v8, 0x1000, v6
	v_med3_i32 v12, v12, 0, 13
	v_lshrrev_b32_e32 v14, v12, v8
	v_lshlrev_b32_e32 v12, v12, v14
	v_cmp_ne_u32_e32 vcc, v12, v8
	v_fma_f16 v3, v40, v9, -v3
	v_cndmask_b32_e64 v8, 0, 1, vcc
	v_add_u32_e32 v10, 0xfffffc10, v10
	v_cvt_f32_f16_e32 v3, v3
	v_or_b32_e32 v8, v14, v8
	v_lshl_or_b32 v12, v10, 12, v6
	v_cmp_gt_i32_e32 vcc, 1, v10
	v_cndmask_b32_e32 v8, v12, v8, vcc
	v_and_b32_e32 v12, 7, v8
	v_cmp_lt_i32_e32 vcc, 5, v12
	v_cmp_eq_u32_e64 s[0:1], 3, v12
	v_lshrrev_b32_e32 v12, 2, v8
	v_cvt_f64_f32_e32 v[8:9], v3
	s_or_b64 vcc, s[0:1], vcc
	v_addc_co_u32_e32 v3, vcc, 0, v12, vcc
	v_mul_f64 v[8:9], v[8:9], s[4:5]
	v_cmp_gt_i32_e32 vcc, 31, v10
	v_cndmask_b32_e32 v3, v0, v3, vcc
	v_cmp_ne_u32_e32 vcc, 0, v6
	v_cndmask_b32_e64 v6, 0, 1, vcc
	v_lshl_or_b32 v6, v6, 9, v0
	v_cmp_eq_u32_e32 vcc, s10, v10
	v_cndmask_b32_e32 v3, v3, v6, vcc
	v_lshrrev_b32_e32 v6, 16, v7
	v_and_or_b32 v3, v6, s11, v3
	v_and_or_b32 v6, v9, s6, v8
	v_cmp_ne_u32_e32 vcc, 0, v6
	v_cndmask_b32_e64 v6, 0, 1, vcc
	v_lshrrev_b32_e32 v7, 8, v9
	v_bfe_u32 v8, v9, 20, 11
	v_and_or_b32 v6, v7, s7, v6
	v_sub_u32_e32 v10, 0x3f1, v8
	v_or_b32_e32 v7, 0x1000, v6
	v_med3_i32 v10, v10, 0, 13
	v_lshrrev_b32_e32 v12, v10, v7
	v_lshlrev_b32_e32 v10, v10, v12
	v_cmp_ne_u32_e32 vcc, v10, v7
	v_cndmask_b32_e64 v7, 0, 1, vcc
	v_add_u32_e32 v8, 0xfffffc10, v8
	v_or_b32_e32 v7, v12, v7
	v_lshl_or_b32 v10, v8, 12, v6
	v_cmp_gt_i32_e32 vcc, 1, v8
	v_cndmask_b32_e32 v7, v10, v7, vcc
	v_and_b32_e32 v10, 7, v7
	v_cmp_lt_i32_e32 vcc, 5, v10
	v_cmp_eq_u32_e64 s[0:1], 3, v10
	v_lshrrev_b32_e32 v7, 2, v7
	s_or_b64 vcc, s[0:1], vcc
	v_addc_co_u32_e32 v7, vcc, 0, v7, vcc
	v_cmp_gt_i32_e32 vcc, 31, v8
	v_cndmask_b32_e32 v7, v0, v7, vcc
	v_cmp_ne_u32_e32 vcc, 0, v6
	v_cndmask_b32_e64 v6, 0, 1, vcc
	v_lshl_or_b32 v6, v6, 9, v0
	v_cmp_eq_u32_e32 vcc, s10, v8
	v_cndmask_b32_e32 v6, v7, v6, vcc
	v_lshrrev_b32_e32 v7, 16, v9
	v_lshrrev_b32_e32 v8, 16, v11
	v_and_or_b32 v6, v7, s11, v6
	v_mul_f16_sdwa v7, v39, v8 dst_sel:DWORD dst_unused:UNUSED_PAD src0_sel:WORD_1 src1_sel:DWORD
	v_fma_f16 v7, v39, v11, v7
	v_cvt_f32_f16_e32 v7, v7
	v_and_b32_e32 v3, 0xffff, v3
	v_lshl_or_b32 v9, v6, 16, v3
	s_mul_hi_u32 s1, s8, 0xfffffba0
	v_cvt_f64_f32_e32 v[6:7], v7
	s_mul_i32 s0, s9, 0xfffffba0
	s_sub_i32 s12, s1, s8
	s_add_i32 s12, s12, s0
	v_mul_f64 v[6:7], v[6:7], s[4:5]
	s_mul_i32 s13, s8, 0xfffffba0
	v_mov_b32_e32 v10, s12
	v_add_co_u32_e32 v3, vcc, s13, v4
	v_addc_co_u32_e32 v4, vcc, v5, v10, vcc
	global_store_dword v[3:4], v9, off
	v_and_or_b32 v5, v7, s6, v6
	v_cmp_ne_u32_e32 vcc, 0, v5
	v_cndmask_b32_e64 v5, 0, 1, vcc
	v_lshrrev_b32_e32 v6, 8, v7
	v_and_or_b32 v9, v6, s7, v5
	v_bfe_u32 v6, v7, 20, 11
	v_sub_u32_e32 v10, 0x3f1, v6
	v_or_b32_e32 v5, 0x1000, v9
	v_med3_i32 v10, v10, 0, 13
	v_lshrrev_b32_e32 v12, v10, v5
	v_lshlrev_b32_e32 v10, v10, v12
	v_mul_f16_sdwa v11, v39, v11 dst_sel:DWORD dst_unused:UNUSED_PAD src0_sel:WORD_1 src1_sel:DWORD
	v_cmp_ne_u32_e32 vcc, v10, v5
	v_fma_f16 v8, v39, v8, -v11
	v_cndmask_b32_e64 v5, 0, 1, vcc
	v_add_u32_e32 v10, 0xfffffc10, v6
	v_cvt_f32_f16_e32 v8, v8
	v_or_b32_e32 v5, v12, v5
	v_lshl_or_b32 v6, v10, 12, v9
	v_cmp_gt_i32_e32 vcc, 1, v10
	v_cndmask_b32_e32 v5, v6, v5, vcc
	v_and_b32_e32 v6, 7, v5
	v_cmp_lt_i32_e32 vcc, 5, v6
	v_cmp_eq_u32_e64 s[0:1], 3, v6
	v_lshrrev_b32_e32 v11, 2, v5
	v_cvt_f64_f32_e32 v[5:6], v8
	s_or_b64 vcc, s[0:1], vcc
	v_addc_co_u32_e32 v8, vcc, 0, v11, vcc
	v_mul_f64 v[5:6], v[5:6], s[4:5]
	v_cmp_gt_i32_e32 vcc, 31, v10
	v_cndmask_b32_e32 v8, v0, v8, vcc
	v_cmp_ne_u32_e32 vcc, 0, v9
	v_cndmask_b32_e64 v9, 0, 1, vcc
	v_lshl_or_b32 v9, v9, 9, v0
	v_cmp_eq_u32_e32 vcc, s10, v10
	v_cndmask_b32_e32 v8, v8, v9, vcc
	v_and_or_b32 v5, v6, s6, v5
	v_lshrrev_b32_e32 v7, 16, v7
	v_cmp_ne_u32_e32 vcc, 0, v5
	v_and_or_b32 v11, v7, s11, v8
	v_cndmask_b32_e64 v5, 0, 1, vcc
	v_lshrrev_b32_e32 v7, 8, v6
	v_bfe_u32 v8, v6, 20, 11
	v_and_or_b32 v5, v7, s7, v5
	v_sub_u32_e32 v9, 0x3f1, v8
	v_or_b32_e32 v7, 0x1000, v5
	v_med3_i32 v9, v9, 0, 13
	v_lshrrev_b32_e32 v10, v9, v7
	v_lshlrev_b32_e32 v9, v9, v10
	v_cmp_ne_u32_e32 vcc, v9, v7
	v_cndmask_b32_e64 v7, 0, 1, vcc
	v_add_u32_e32 v9, 0xfffffc10, v8
	v_or_b32_e32 v7, v10, v7
	v_lshl_or_b32 v8, v9, 12, v5
	v_cmp_gt_i32_e32 vcc, 1, v9
	v_cndmask_b32_e32 v7, v8, v7, vcc
	v_and_b32_e32 v8, 7, v7
	v_cmp_lt_i32_e32 vcc, 5, v8
	v_cmp_eq_u32_e64 s[0:1], 3, v8
	v_lshrrev_b32_e32 v7, 2, v7
	s_or_b64 vcc, s[0:1], vcc
	v_addc_co_u32_e32 v10, vcc, 0, v7, vcc
	ds_read2_b32 v[7:8], v30 offset0:112 offset1:168
	v_cmp_gt_i32_e32 vcc, 31, v9
	v_cndmask_b32_e32 v10, v0, v10, vcc
	v_cmp_ne_u32_e32 vcc, 0, v5
	v_cndmask_b32_e64 v5, 0, 1, vcc
	s_waitcnt lgkmcnt(0)
	v_lshrrev_b32_e32 v12, 16, v7
	v_mul_f16_sdwa v14, v38, v12 dst_sel:DWORD dst_unused:UNUSED_PAD src0_sel:WORD_1 src1_sel:DWORD
	v_fma_f16 v14, v38, v7, v14
	v_cvt_f32_f16_e32 v14, v14
	v_lshl_or_b32 v5, v5, 9, v0
	v_cmp_eq_u32_e32 vcc, s10, v9
	v_cndmask_b32_e32 v5, v10, v5, vcc
	v_cvt_f64_f32_e32 v[9:10], v14
	v_lshrrev_b32_e32 v6, 16, v6
	v_and_or_b32 v14, v6, s11, v5
	v_add_co_u32_e32 v3, vcc, s3, v3
	v_mul_f64 v[5:6], v[9:10], s[4:5]
	v_mov_b32_e32 v10, s2
	v_and_b32_e32 v11, 0xffff, v11
	v_addc_co_u32_e32 v4, vcc, v4, v10, vcc
	v_lshl_or_b32 v9, v14, 16, v11
	global_store_dword v[3:4], v9, off
	v_mul_f16_sdwa v7, v38, v7 dst_sel:DWORD dst_unused:UNUSED_PAD src0_sel:WORD_1 src1_sel:DWORD
	v_and_or_b32 v5, v6, s6, v5
	v_cmp_ne_u32_e32 vcc, 0, v5
	v_cndmask_b32_e64 v5, 0, 1, vcc
	v_lshrrev_b32_e32 v9, 8, v6
	v_bfe_u32 v10, v6, 20, 11
	v_and_or_b32 v5, v9, s7, v5
	v_sub_u32_e32 v11, 0x3f1, v10
	v_or_b32_e32 v9, 0x1000, v5
	v_med3_i32 v11, v11, 0, 13
	v_lshrrev_b32_e32 v14, v11, v9
	v_lshlrev_b32_e32 v11, v11, v14
	v_cmp_ne_u32_e32 vcc, v11, v9
	v_fma_f16 v7, v38, v12, -v7
	v_cndmask_b32_e64 v9, 0, 1, vcc
	v_add_u32_e32 v11, 0xfffffc10, v10
	v_cvt_f32_f16_e32 v7, v7
	v_or_b32_e32 v9, v14, v9
	v_lshl_or_b32 v10, v11, 12, v5
	v_cmp_gt_i32_e32 vcc, 1, v11
	v_cndmask_b32_e32 v9, v10, v9, vcc
	v_and_b32_e32 v10, 7, v9
	v_cmp_lt_i32_e32 vcc, 5, v10
	v_cmp_eq_u32_e64 s[0:1], 3, v10
	v_lshrrev_b32_e32 v12, 2, v9
	v_cvt_f64_f32_e32 v[9:10], v7
	s_or_b64 vcc, s[0:1], vcc
	v_addc_co_u32_e32 v7, vcc, 0, v12, vcc
	v_mul_f64 v[9:10], v[9:10], s[4:5]
	v_cmp_gt_i32_e32 vcc, 31, v11
	v_cndmask_b32_e32 v7, v0, v7, vcc
	v_cmp_ne_u32_e32 vcc, 0, v5
	v_cndmask_b32_e64 v5, 0, 1, vcc
	v_lshl_or_b32 v5, v5, 9, v0
	v_cmp_eq_u32_e32 vcc, s10, v11
	v_cndmask_b32_e32 v5, v7, v5, vcc
	v_lshrrev_b32_e32 v6, 16, v6
	v_and_or_b32 v7, v6, s11, v5
	v_and_or_b32 v5, v10, s6, v9
	v_cmp_ne_u32_e32 vcc, 0, v5
	v_cndmask_b32_e64 v5, 0, 1, vcc
	v_lshrrev_b32_e32 v6, 8, v10
	v_and_or_b32 v9, v6, s7, v5
	v_bfe_u32 v6, v10, 20, 11
	v_sub_u32_e32 v11, 0x3f1, v6
	v_or_b32_e32 v5, 0x1000, v9
	v_med3_i32 v11, v11, 0, 13
	v_lshrrev_b32_e32 v12, v11, v5
	v_lshlrev_b32_e32 v11, v11, v12
	v_cmp_ne_u32_e32 vcc, v11, v5
	v_cndmask_b32_e64 v5, 0, 1, vcc
	v_add_u32_e32 v11, 0xfffffc10, v6
	v_or_b32_e32 v5, v12, v5
	v_lshl_or_b32 v6, v11, 12, v9
	v_cmp_gt_i32_e32 vcc, 1, v11
	v_cndmask_b32_e32 v5, v6, v5, vcc
	v_and_b32_e32 v6, 7, v5
	v_cmp_lt_i32_e32 vcc, 5, v6
	v_cmp_eq_u32_e64 s[0:1], 3, v6
	v_lshrrev_b32_e32 v5, 2, v5
	s_or_b64 vcc, s[0:1], vcc
	v_addc_co_u32_e32 v12, vcc, 0, v5, vcc
	ds_read2_b32 v[5:6], v13 offset0:192 offset1:248
	v_cmp_gt_i32_e32 vcc, 31, v11
	v_cndmask_b32_e32 v12, v0, v12, vcc
	v_cmp_ne_u32_e32 vcc, 0, v9
	v_cndmask_b32_e64 v9, 0, 1, vcc
	s_waitcnt lgkmcnt(0)
	v_lshrrev_b32_e32 v13, 16, v5
	v_mul_f16_sdwa v14, v37, v13 dst_sel:DWORD dst_unused:UNUSED_PAD src0_sel:WORD_1 src1_sel:DWORD
	v_fma_f16 v14, v37, v5, v14
	v_cvt_f32_f16_e32 v14, v14
	v_lshl_or_b32 v9, v9, 9, v0
	v_cmp_eq_u32_e32 vcc, s10, v11
	v_cndmask_b32_e32 v9, v12, v9, vcc
	v_cvt_f64_f32_e32 v[11:12], v14
	v_lshrrev_b32_e32 v10, 16, v10
	v_and_or_b32 v14, v10, s11, v9
	v_and_b32_e32 v7, 0xffff, v7
	v_mul_f64 v[9:10], v[11:12], s[4:5]
	v_mov_b32_e32 v11, s12
	v_add_co_u32_e32 v3, vcc, s13, v3
	v_lshl_or_b32 v7, v14, 16, v7
	v_addc_co_u32_e32 v4, vcc, v4, v11, vcc
	global_store_dword v[3:4], v7, off
	v_and_or_b32 v7, v10, s6, v9
	v_cmp_ne_u32_e32 vcc, 0, v7
	v_cndmask_b32_e64 v7, 0, 1, vcc
	v_lshrrev_b32_e32 v9, 8, v10
	v_bfe_u32 v11, v10, 20, 11
	v_and_or_b32 v7, v9, s7, v7
	v_sub_u32_e32 v12, 0x3f1, v11
	v_or_b32_e32 v9, 0x1000, v7
	v_med3_i32 v12, v12, 0, 13
	v_lshrrev_b32_e32 v14, v12, v9
	v_lshlrev_b32_e32 v12, v12, v14
	v_cmp_ne_u32_e32 vcc, v12, v9
	v_mul_f16_sdwa v5, v37, v5 dst_sel:DWORD dst_unused:UNUSED_PAD src0_sel:WORD_1 src1_sel:DWORD
	v_cndmask_b32_e64 v9, 0, 1, vcc
	v_fma_f16 v5, v37, v13, -v5
	v_or_b32_e32 v9, v14, v9
	v_add_u32_e32 v14, 0xfffffc10, v11
	v_cvt_f32_f16_e32 v5, v5
	v_lshl_or_b32 v11, v14, 12, v7
	v_cmp_gt_i32_e32 vcc, 1, v14
	v_cndmask_b32_e32 v9, v11, v9, vcc
	v_and_b32_e32 v11, 7, v9
	v_cmp_lt_i32_e32 vcc, 5, v11
	v_cmp_eq_u32_e64 s[0:1], 3, v11
	v_cvt_f64_f32_e32 v[11:12], v5
	v_lshrrev_b32_e32 v9, 2, v9
	s_or_b64 vcc, s[0:1], vcc
	v_addc_co_u32_e32 v5, vcc, 0, v9, vcc
	v_mul_f64 v[11:12], v[11:12], s[4:5]
	v_cmp_gt_i32_e32 vcc, 31, v14
	v_cndmask_b32_e32 v5, v0, v5, vcc
	v_cmp_ne_u32_e32 vcc, 0, v7
	v_cndmask_b32_e64 v7, 0, 1, vcc
	v_lshl_or_b32 v7, v7, 9, v0
	v_cmp_eq_u32_e32 vcc, s10, v14
	v_cndmask_b32_e32 v5, v5, v7, vcc
	v_lshrrev_b32_e32 v7, 16, v10
	v_and_or_b32 v7, v7, s11, v5
	v_and_or_b32 v5, v12, s6, v11
	v_cmp_ne_u32_e32 vcc, 0, v5
	v_cndmask_b32_e64 v5, 0, 1, vcc
	v_lshrrev_b32_e32 v9, 8, v12
	v_bfe_u32 v10, v12, 20, 11
	v_and_or_b32 v5, v9, s7, v5
	v_sub_u32_e32 v11, 0x3f1, v10
	v_or_b32_e32 v9, 0x1000, v5
	v_med3_i32 v11, v11, 0, 13
	v_lshrrev_b32_e32 v13, v11, v9
	v_lshlrev_b32_e32 v11, v11, v13
	v_cmp_ne_u32_e32 vcc, v11, v9
	v_cndmask_b32_e64 v9, 0, 1, vcc
	v_add_u32_e32 v11, 0xfffffc10, v10
	v_or_b32_e32 v9, v13, v9
	v_lshl_or_b32 v10, v11, 12, v5
	v_cmp_gt_i32_e32 vcc, 1, v11
	v_cndmask_b32_e32 v9, v10, v9, vcc
	v_and_b32_e32 v10, 7, v9
	v_cmp_lt_i32_e32 vcc, 5, v10
	v_cmp_eq_u32_e64 s[0:1], 3, v10
	v_lshrrev_b32_e32 v9, 2, v9
	s_or_b64 vcc, s[0:1], vcc
	v_addc_co_u32_e32 v9, vcc, 0, v9, vcc
	v_cmp_gt_i32_e32 vcc, 31, v11
	v_cndmask_b32_e32 v13, v0, v9, vcc
	v_mad_u64_u32 v[9:10], s[0:1], s8, v36, 0
	v_cmp_ne_u32_e32 vcc, 0, v5
	v_cndmask_b32_e64 v5, 0, 1, vcc
	v_lshl_or_b32 v5, v5, 9, v0
	v_cmp_eq_u32_e32 vcc, s10, v11
	v_lshrrev_b32_e32 v14, 16, v8
	v_cndmask_b32_e32 v13, v13, v5, vcc
	v_mov_b32_e32 v5, v10
	v_mul_f16_sdwa v10, v35, v14 dst_sel:DWORD dst_unused:UNUSED_PAD src0_sel:WORD_1 src1_sel:DWORD
	v_fma_f16 v10, v35, v8, v10
	v_cvt_f32_f16_e32 v15, v10
	v_mad_u64_u32 v[10:11], s[0:1], s9, v36, v[5:6]
	v_lshrrev_b32_e32 v5, 16, v12
	v_cvt_f64_f32_e32 v[11:12], v15
	v_lshlrev_b64 v[9:10], 2, v[9:10]
	v_and_or_b32 v5, v5, s11, v13
	v_and_b32_e32 v7, 0xffff, v7
	v_mul_f64 v[11:12], v[11:12], s[4:5]
	v_add_co_u32_e32 v1, vcc, v1, v9
	v_lshl_or_b32 v5, v5, 16, v7
	v_addc_co_u32_e32 v2, vcc, v2, v10, vcc
	global_store_dword v[1:2], v5, off
	v_mul_f16_sdwa v8, v35, v8 dst_sel:DWORD dst_unused:UNUSED_PAD src0_sel:WORD_1 src1_sel:DWORD
	v_and_or_b32 v1, v12, s6, v11
	v_cmp_ne_u32_e32 vcc, 0, v1
	v_cndmask_b32_e64 v1, 0, 1, vcc
	v_lshrrev_b32_e32 v2, 8, v12
	v_and_or_b32 v5, v2, s7, v1
	v_bfe_u32 v2, v12, 20, 11
	v_sub_u32_e32 v7, 0x3f1, v2
	v_or_b32_e32 v1, 0x1000, v5
	v_med3_i32 v7, v7, 0, 13
	v_lshrrev_b32_e32 v9, v7, v1
	v_lshlrev_b32_e32 v7, v7, v9
	v_cmp_ne_u32_e32 vcc, v7, v1
	v_fma_f16 v8, v35, v14, -v8
	v_cndmask_b32_e64 v1, 0, 1, vcc
	v_add_u32_e32 v7, 0xfffffc10, v2
	v_cvt_f32_f16_e32 v8, v8
	v_or_b32_e32 v1, v9, v1
	v_lshl_or_b32 v2, v7, 12, v5
	v_cmp_gt_i32_e32 vcc, 1, v7
	v_cndmask_b32_e32 v1, v2, v1, vcc
	v_and_b32_e32 v2, 7, v1
	v_cmp_lt_i32_e32 vcc, 5, v2
	v_cmp_eq_u32_e64 s[0:1], 3, v2
	v_lshrrev_b32_e32 v9, 2, v1
	v_cvt_f64_f32_e32 v[1:2], v8
	s_or_b64 vcc, s[0:1], vcc
	v_addc_co_u32_e32 v8, vcc, 0, v9, vcc
	v_mul_f64 v[1:2], v[1:2], s[4:5]
	v_cmp_gt_i32_e32 vcc, 31, v7
	v_cndmask_b32_e32 v8, v0, v8, vcc
	v_cmp_ne_u32_e32 vcc, 0, v5
	v_cndmask_b32_e64 v5, 0, 1, vcc
	v_lshl_or_b32 v5, v5, 9, v0
	v_cmp_eq_u32_e32 vcc, s10, v7
	v_cndmask_b32_e32 v5, v8, v5, vcc
	v_and_or_b32 v1, v2, s6, v1
	v_lshrrev_b32_e32 v7, 16, v12
	v_cmp_ne_u32_e32 vcc, 0, v1
	v_and_or_b32 v5, v7, s11, v5
	v_cndmask_b32_e64 v1, 0, 1, vcc
	v_lshrrev_b32_e32 v7, 8, v2
	v_bfe_u32 v8, v2, 20, 11
	v_and_or_b32 v1, v7, s7, v1
	v_sub_u32_e32 v9, 0x3f1, v8
	v_or_b32_e32 v7, 0x1000, v1
	v_med3_i32 v9, v9, 0, 13
	v_lshrrev_b32_e32 v10, v9, v7
	v_lshlrev_b32_e32 v9, v9, v10
	v_cmp_ne_u32_e32 vcc, v9, v7
	v_cndmask_b32_e64 v7, 0, 1, vcc
	v_add_u32_e32 v8, 0xfffffc10, v8
	v_or_b32_e32 v7, v10, v7
	v_lshl_or_b32 v9, v8, 12, v1
	v_cmp_gt_i32_e32 vcc, 1, v8
	v_cndmask_b32_e32 v7, v9, v7, vcc
	v_and_b32_e32 v9, 7, v7
	v_cmp_lt_i32_e32 vcc, 5, v9
	v_cmp_eq_u32_e64 s[0:1], 3, v9
	v_lshrrev_b32_e32 v9, 16, v6
	v_lshrrev_b32_e32 v7, 2, v7
	s_or_b64 vcc, s[0:1], vcc
	v_mul_f16_sdwa v10, v34, v9 dst_sel:DWORD dst_unused:UNUSED_PAD src0_sel:WORD_1 src1_sel:DWORD
	v_addc_co_u32_e32 v7, vcc, 0, v7, vcc
	v_fma_f16 v10, v34, v6, v10
	v_cmp_gt_i32_e32 vcc, 31, v8
	v_cvt_f32_f16_e32 v10, v10
	v_cndmask_b32_e32 v7, v0, v7, vcc
	v_cmp_ne_u32_e32 vcc, 0, v1
	v_cndmask_b32_e64 v1, 0, 1, vcc
	v_lshl_or_b32 v1, v1, 9, v0
	v_cmp_eq_u32_e32 vcc, s10, v8
	v_cndmask_b32_e32 v1, v7, v1, vcc
	v_cvt_f64_f32_e32 v[7:8], v10
	v_lshrrev_b32_e32 v2, 16, v2
	v_and_or_b32 v10, v2, s11, v1
	v_mov_b32_e32 v11, 0xe0
	v_mul_f64 v[1:2], v[7:8], s[4:5]
	v_mad_u64_u32 v[3:4], s[0:1], s8, v11, v[3:4]
	v_and_b32_e32 v5, 0xffff, v5
	s_mul_i32 s0, s9, 0xe0
	v_lshl_or_b32 v5, v10, 16, v5
	v_add_u32_e32 v4, s0, v4
	global_store_dword v[3:4], v5, off
	v_and_or_b32 v1, v2, s6, v1
	v_cmp_ne_u32_e32 vcc, 0, v1
	v_cndmask_b32_e64 v1, 0, 1, vcc
	v_lshrrev_b32_e32 v5, 8, v2
	v_bfe_u32 v7, v2, 20, 11
	v_and_or_b32 v1, v5, s7, v1
	v_sub_u32_e32 v8, 0x3f1, v7
	v_or_b32_e32 v5, 0x1000, v1
	v_med3_i32 v8, v8, 0, 13
	v_lshrrev_b32_e32 v10, v8, v5
	v_lshlrev_b32_e32 v8, v8, v10
	v_mul_f16_sdwa v6, v34, v6 dst_sel:DWORD dst_unused:UNUSED_PAD src0_sel:WORD_1 src1_sel:DWORD
	v_cmp_ne_u32_e32 vcc, v8, v5
	v_fma_f16 v6, v34, v9, -v6
	v_cndmask_b32_e64 v5, 0, 1, vcc
	v_add_u32_e32 v7, 0xfffffc10, v7
	v_cvt_f32_f16_e32 v6, v6
	v_or_b32_e32 v5, v10, v5
	v_lshl_or_b32 v8, v7, 12, v1
	v_cmp_gt_i32_e32 vcc, 1, v7
	v_cndmask_b32_e32 v5, v8, v5, vcc
	v_and_b32_e32 v8, 7, v5
	v_cmp_lt_i32_e32 vcc, 5, v8
	v_cmp_eq_u32_e64 s[0:1], 3, v8
	v_lshrrev_b32_e32 v8, 2, v5
	v_cvt_f64_f32_e32 v[5:6], v6
	s_or_b64 vcc, s[0:1], vcc
	v_addc_co_u32_e32 v8, vcc, 0, v8, vcc
	v_mul_f64 v[5:6], v[5:6], s[4:5]
	v_cmp_gt_i32_e32 vcc, 31, v7
	v_cndmask_b32_e32 v8, v0, v8, vcc
	v_cmp_ne_u32_e32 vcc, 0, v1
	v_cndmask_b32_e64 v1, 0, 1, vcc
	v_lshl_or_b32 v1, v1, 9, v0
	v_cmp_eq_u32_e32 vcc, s10, v7
	v_cndmask_b32_e32 v1, v8, v1, vcc
	v_lshrrev_b32_e32 v2, 16, v2
	v_and_or_b32 v9, v2, s11, v1
	v_and_or_b32 v1, v6, s6, v5
	v_cmp_ne_u32_e32 vcc, 0, v1
	v_cndmask_b32_e64 v1, 0, 1, vcc
	v_lshrrev_b32_e32 v2, 8, v6
	v_and_or_b32 v5, v2, s7, v1
	v_bfe_u32 v2, v6, 20, 11
	v_sub_u32_e32 v7, 0x3f1, v2
	v_or_b32_e32 v1, 0x1000, v5
	v_med3_i32 v7, v7, 0, 13
	v_lshrrev_b32_e32 v8, v7, v1
	v_lshlrev_b32_e32 v7, v7, v8
	v_cmp_ne_u32_e32 vcc, v7, v1
	v_cndmask_b32_e64 v1, 0, 1, vcc
	v_add_u32_e32 v7, 0xfffffc10, v2
	v_or_b32_e32 v1, v8, v1
	v_lshl_or_b32 v2, v7, 12, v5
	v_cmp_gt_i32_e32 vcc, 1, v7
	v_cndmask_b32_e32 v1, v2, v1, vcc
	v_and_b32_e32 v2, 7, v1
	v_cmp_lt_i32_e32 vcc, 5, v2
	v_cmp_eq_u32_e64 s[0:1], 3, v2
	v_lshrrev_b32_e32 v1, 2, v1
	s_or_b64 vcc, s[0:1], vcc
	v_addc_co_u32_e32 v8, vcc, 0, v1, vcc
	v_add_u32_e32 v1, 0x200, v30
	ds_read2_b32 v[1:2], v1 offset0:96 offset1:152
	v_cmp_gt_i32_e32 vcc, 31, v7
	v_cndmask_b32_e32 v8, v0, v8, vcc
	v_cmp_ne_u32_e32 vcc, 0, v5
	v_cndmask_b32_e64 v5, 0, 1, vcc
	s_waitcnt lgkmcnt(0)
	v_lshrrev_b32_e32 v10, 16, v1
	v_mul_f16_sdwa v11, v33, v10 dst_sel:DWORD dst_unused:UNUSED_PAD src0_sel:WORD_1 src1_sel:DWORD
	v_fma_f16 v11, v33, v1, v11
	v_cvt_f32_f16_e32 v11, v11
	v_lshl_or_b32 v5, v5, 9, v0
	v_cmp_eq_u32_e32 vcc, s10, v7
	v_cndmask_b32_e32 v5, v8, v5, vcc
	v_cvt_f64_f32_e32 v[7:8], v11
	v_lshrrev_b32_e32 v6, 16, v6
	v_and_or_b32 v11, v6, s11, v5
	v_add_co_u32_e32 v3, vcc, s3, v3
	v_mul_f64 v[5:6], v[7:8], s[4:5]
	v_mov_b32_e32 v8, s2
	v_and_b32_e32 v9, 0xffff, v9
	v_addc_co_u32_e32 v4, vcc, v4, v8, vcc
	v_lshl_or_b32 v7, v11, 16, v9
	global_store_dword v[3:4], v7, off
	v_mul_f16_sdwa v1, v33, v1 dst_sel:DWORD dst_unused:UNUSED_PAD src0_sel:WORD_1 src1_sel:DWORD
	v_and_or_b32 v5, v6, s6, v5
	v_cmp_ne_u32_e32 vcc, 0, v5
	v_cndmask_b32_e64 v5, 0, 1, vcc
	v_lshrrev_b32_e32 v7, 8, v6
	v_bfe_u32 v8, v6, 20, 11
	v_and_or_b32 v5, v7, s7, v5
	v_sub_u32_e32 v9, 0x3f1, v8
	v_or_b32_e32 v7, 0x1000, v5
	v_med3_i32 v9, v9, 0, 13
	v_lshrrev_b32_e32 v11, v9, v7
	v_lshlrev_b32_e32 v9, v9, v11
	v_cmp_ne_u32_e32 vcc, v9, v7
	v_fma_f16 v1, v33, v10, -v1
	v_cndmask_b32_e64 v7, 0, 1, vcc
	v_add_u32_e32 v9, 0xfffffc10, v8
	v_cvt_f32_f16_e32 v1, v1
	v_or_b32_e32 v7, v11, v7
	v_lshl_or_b32 v8, v9, 12, v5
	v_cmp_gt_i32_e32 vcc, 1, v9
	v_cndmask_b32_e32 v7, v8, v7, vcc
	v_and_b32_e32 v8, 7, v7
	v_cmp_lt_i32_e32 vcc, 5, v8
	v_cmp_eq_u32_e64 s[0:1], 3, v8
	v_lshrrev_b32_e32 v10, 2, v7
	v_cvt_f64_f32_e32 v[7:8], v1
	s_or_b64 vcc, s[0:1], vcc
	v_addc_co_u32_e32 v1, vcc, 0, v10, vcc
	v_mul_f64 v[7:8], v[7:8], s[4:5]
	v_cmp_gt_i32_e32 vcc, 31, v9
	v_cndmask_b32_e32 v1, v0, v1, vcc
	v_cmp_ne_u32_e32 vcc, 0, v5
	v_cndmask_b32_e64 v5, 0, 1, vcc
	v_lshl_or_b32 v5, v5, 9, v0
	v_cmp_eq_u32_e32 vcc, s10, v9
	v_cndmask_b32_e32 v1, v1, v5, vcc
	v_lshrrev_b32_e32 v5, 16, v6
	v_and_or_b32 v1, v5, s11, v1
	v_and_or_b32 v5, v8, s6, v7
	v_cmp_ne_u32_e32 vcc, 0, v5
	v_cndmask_b32_e64 v5, 0, 1, vcc
	v_lshrrev_b32_e32 v6, 8, v8
	v_and_or_b32 v7, v6, s7, v5
	v_bfe_u32 v6, v8, 20, 11
	v_sub_u32_e32 v9, 0x3f1, v6
	v_or_b32_e32 v5, 0x1000, v7
	v_med3_i32 v9, v9, 0, 13
	v_lshrrev_b32_e32 v10, v9, v5
	v_lshlrev_b32_e32 v9, v9, v10
	v_cmp_ne_u32_e32 vcc, v9, v5
	v_cndmask_b32_e64 v5, 0, 1, vcc
	v_add_u32_e32 v9, 0xfffffc10, v6
	v_or_b32_e32 v5, v10, v5
	v_lshl_or_b32 v6, v9, 12, v7
	v_cmp_gt_i32_e32 vcc, 1, v9
	v_cndmask_b32_e32 v5, v6, v5, vcc
	v_and_b32_e32 v6, 7, v5
	v_cmp_lt_i32_e32 vcc, 5, v6
	v_cmp_eq_u32_e64 s[0:1], 3, v6
	v_lshrrev_b32_e32 v5, 2, v5
	s_or_b64 vcc, s[0:1], vcc
	v_addc_co_u32_e32 v10, vcc, 0, v5, vcc
	v_add_u32_e32 v5, 0x800, v30
	ds_read2_b32 v[5:6], v5 offset0:48 offset1:104
	v_cmp_gt_i32_e32 vcc, 31, v9
	v_cndmask_b32_e32 v10, v0, v10, vcc
	v_cmp_ne_u32_e32 vcc, 0, v7
	v_cndmask_b32_e64 v7, 0, 1, vcc
	s_waitcnt lgkmcnt(0)
	v_lshrrev_b32_e32 v11, 16, v5
	v_mul_f16_sdwa v12, v32, v11 dst_sel:DWORD dst_unused:UNUSED_PAD src0_sel:WORD_1 src1_sel:DWORD
	v_fma_f16 v12, v32, v5, v12
	v_cvt_f32_f16_e32 v12, v12
	v_lshl_or_b32 v7, v7, 9, v0
	v_cmp_eq_u32_e32 vcc, s10, v9
	v_cndmask_b32_e32 v7, v10, v7, vcc
	v_cvt_f64_f32_e32 v[9:10], v12
	v_lshrrev_b32_e32 v8, 16, v8
	v_and_or_b32 v12, v8, s11, v7
	v_and_b32_e32 v1, 0xffff, v1
	v_mul_f64 v[7:8], v[9:10], s[4:5]
	v_mov_b32_e32 v9, s12
	v_add_co_u32_e32 v3, vcc, s13, v3
	v_lshl_or_b32 v1, v12, 16, v1
	v_addc_co_u32_e32 v4, vcc, v4, v9, vcc
	global_store_dword v[3:4], v1, off
	v_and_or_b32 v1, v8, s6, v7
	v_cmp_ne_u32_e32 vcc, 0, v1
	v_cndmask_b32_e64 v1, 0, 1, vcc
	v_lshrrev_b32_e32 v7, 8, v8
	v_bfe_u32 v9, v8, 20, 11
	v_and_or_b32 v1, v7, s7, v1
	v_sub_u32_e32 v10, 0x3f1, v9
	v_or_b32_e32 v7, 0x1000, v1
	v_med3_i32 v10, v10, 0, 13
	v_lshrrev_b32_e32 v12, v10, v7
	v_lshlrev_b32_e32 v10, v10, v12
	v_cmp_ne_u32_e32 vcc, v10, v7
	v_mul_f16_sdwa v5, v32, v5 dst_sel:DWORD dst_unused:UNUSED_PAD src0_sel:WORD_1 src1_sel:DWORD
	v_cndmask_b32_e64 v7, 0, 1, vcc
	v_fma_f16 v5, v32, v11, -v5
	v_or_b32_e32 v7, v12, v7
	v_add_u32_e32 v12, 0xfffffc10, v9
	v_cvt_f32_f16_e32 v5, v5
	v_lshl_or_b32 v9, v12, 12, v1
	v_cmp_gt_i32_e32 vcc, 1, v12
	v_cndmask_b32_e32 v7, v9, v7, vcc
	v_and_b32_e32 v9, 7, v7
	v_cmp_lt_i32_e32 vcc, 5, v9
	v_cmp_eq_u32_e64 s[0:1], 3, v9
	v_cvt_f64_f32_e32 v[9:10], v5
	v_lshrrev_b32_e32 v7, 2, v7
	s_or_b64 vcc, s[0:1], vcc
	v_addc_co_u32_e32 v5, vcc, 0, v7, vcc
	v_mul_f64 v[9:10], v[9:10], s[4:5]
	v_cmp_gt_i32_e32 vcc, 31, v12
	v_cndmask_b32_e32 v5, v0, v5, vcc
	v_cmp_ne_u32_e32 vcc, 0, v1
	v_cndmask_b32_e64 v1, 0, 1, vcc
	v_lshl_or_b32 v1, v1, 9, v0
	v_cmp_eq_u32_e32 vcc, s10, v12
	v_cndmask_b32_e32 v1, v5, v1, vcc
	v_lshrrev_b32_e32 v5, 16, v8
	v_and_or_b32 v1, v5, s11, v1
	v_and_or_b32 v5, v10, s6, v9
	v_cmp_ne_u32_e32 vcc, 0, v5
	v_cndmask_b32_e64 v5, 0, 1, vcc
	v_lshrrev_b32_e32 v7, 8, v10
	v_bfe_u32 v8, v10, 20, 11
	v_and_or_b32 v5, v7, s7, v5
	v_sub_u32_e32 v9, 0x3f1, v8
	v_or_b32_e32 v7, 0x1000, v5
	v_med3_i32 v9, v9, 0, 13
	v_lshrrev_b32_e32 v11, v9, v7
	v_lshlrev_b32_e32 v9, v9, v11
	v_cmp_ne_u32_e32 vcc, v9, v7
	v_cndmask_b32_e64 v7, 0, 1, vcc
	v_add_u32_e32 v8, 0xfffffc10, v8
	v_or_b32_e32 v7, v11, v7
	v_lshl_or_b32 v9, v8, 12, v5
	v_cmp_gt_i32_e32 vcc, 1, v8
	v_cndmask_b32_e32 v7, v9, v7, vcc
	v_and_b32_e32 v9, 7, v7
	v_cmp_lt_i32_e32 vcc, 5, v9
	v_cmp_eq_u32_e64 s[0:1], 3, v9
	v_lshrrev_b32_e32 v9, 16, v2
	v_lshrrev_b32_e32 v7, 2, v7
	s_or_b64 vcc, s[0:1], vcc
	v_mul_f16_sdwa v11, v31, v9 dst_sel:DWORD dst_unused:UNUSED_PAD src0_sel:WORD_1 src1_sel:DWORD
	v_addc_co_u32_e32 v7, vcc, 0, v7, vcc
	v_fma_f16 v11, v31, v2, v11
	v_cmp_gt_i32_e32 vcc, 31, v8
	v_cvt_f32_f16_e32 v11, v11
	v_cndmask_b32_e32 v7, v0, v7, vcc
	v_cmp_ne_u32_e32 vcc, 0, v5
	v_cndmask_b32_e64 v5, 0, 1, vcc
	v_lshl_or_b32 v5, v5, 9, v0
	v_cmp_eq_u32_e32 vcc, s10, v8
	v_cndmask_b32_e32 v5, v7, v5, vcc
	v_cvt_f64_f32_e32 v[7:8], v11
	v_lshrrev_b32_e32 v10, 16, v10
	v_and_or_b32 v5, v10, s11, v5
	v_and_b32_e32 v1, 0xffff, v1
	v_mul_f64 v[7:8], v[7:8], s[4:5]
	v_lshl_or_b32 v1, v5, 16, v1
	v_mov_b32_e32 v5, s2
	v_add_co_u32_e32 v3, vcc, s3, v3
	v_addc_co_u32_e32 v4, vcc, v4, v5, vcc
	global_store_dword v[3:4], v1, off
	v_and_or_b32 v1, v8, s6, v7
	v_cmp_ne_u32_e32 vcc, 0, v1
	v_cndmask_b32_e64 v1, 0, 1, vcc
	v_lshrrev_b32_e32 v5, 8, v8
	v_bfe_u32 v7, v8, 20, 11
	v_and_or_b32 v5, v5, s7, v1
	v_sub_u32_e32 v10, 0x3f1, v7
	v_or_b32_e32 v1, 0x1000, v5
	v_med3_i32 v10, v10, 0, 13
	v_lshrrev_b32_e32 v11, v10, v1
	v_mul_f16_sdwa v2, v31, v2 dst_sel:DWORD dst_unused:UNUSED_PAD src0_sel:WORD_1 src1_sel:DWORD
	v_lshlrev_b32_e32 v10, v10, v11
	v_fma_f16 v2, v31, v9, -v2
	v_cmp_ne_u32_e32 vcc, v10, v1
	v_cvt_f32_f16_e32 v2, v2
	v_cndmask_b32_e64 v1, 0, 1, vcc
	v_add_u32_e32 v7, 0xfffffc10, v7
	v_or_b32_e32 v1, v11, v1
	v_lshl_or_b32 v10, v7, 12, v5
	v_cmp_gt_i32_e32 vcc, 1, v7
	v_cndmask_b32_e32 v1, v10, v1, vcc
	v_and_b32_e32 v10, 7, v1
	v_lshrrev_b32_e32 v9, 2, v1
	v_cvt_f64_f32_e32 v[1:2], v2
	v_cmp_lt_i32_e32 vcc, 5, v10
	v_cmp_eq_u32_e64 s[0:1], 3, v10
	s_or_b64 vcc, s[0:1], vcc
	v_mul_f64 v[1:2], v[1:2], s[4:5]
	v_addc_co_u32_e32 v9, vcc, 0, v9, vcc
	v_cmp_gt_i32_e32 vcc, 31, v7
	v_cndmask_b32_e32 v9, v0, v9, vcc
	v_cmp_ne_u32_e32 vcc, 0, v5
	v_cndmask_b32_e64 v5, 0, 1, vcc
	v_lshl_or_b32 v5, v5, 9, v0
	v_cmp_eq_u32_e32 vcc, s10, v7
	v_and_or_b32 v1, v2, s6, v1
	v_cndmask_b32_e32 v5, v9, v5, vcc
	v_lshrrev_b32_e32 v7, 16, v8
	v_cmp_ne_u32_e32 vcc, 0, v1
	v_and_or_b32 v5, v7, s11, v5
	v_cndmask_b32_e64 v1, 0, 1, vcc
	v_lshrrev_b32_e32 v7, 8, v2
	v_bfe_u32 v8, v2, 20, 11
	v_and_or_b32 v1, v7, s7, v1
	v_sub_u32_e32 v9, 0x3f1, v8
	v_or_b32_e32 v7, 0x1000, v1
	v_med3_i32 v9, v9, 0, 13
	v_lshrrev_b32_e32 v10, v9, v7
	v_lshlrev_b32_e32 v9, v9, v10
	v_cmp_ne_u32_e32 vcc, v9, v7
	v_cndmask_b32_e64 v7, 0, 1, vcc
	v_add_u32_e32 v8, 0xfffffc10, v8
	v_or_b32_e32 v7, v10, v7
	v_lshl_or_b32 v9, v8, 12, v1
	v_cmp_gt_i32_e32 vcc, 1, v8
	v_cndmask_b32_e32 v7, v9, v7, vcc
	v_and_b32_e32 v9, 7, v7
	v_cmp_lt_i32_e32 vcc, 5, v9
	v_cmp_eq_u32_e64 s[0:1], 3, v9
	v_lshrrev_b32_e32 v9, 16, v6
	v_lshrrev_b32_e32 v7, 2, v7
	s_or_b64 vcc, s[0:1], vcc
	v_mul_f16_sdwa v10, v29, v9 dst_sel:DWORD dst_unused:UNUSED_PAD src0_sel:WORD_1 src1_sel:DWORD
	v_addc_co_u32_e32 v7, vcc, 0, v7, vcc
	v_fma_f16 v10, v29, v6, v10
	v_cmp_gt_i32_e32 vcc, 31, v8
	v_cvt_f32_f16_e32 v10, v10
	v_cndmask_b32_e32 v7, v0, v7, vcc
	v_cmp_ne_u32_e32 vcc, 0, v1
	v_cndmask_b32_e64 v1, 0, 1, vcc
	v_lshl_or_b32 v1, v1, 9, v0
	v_cmp_eq_u32_e32 vcc, s10, v8
	v_cndmask_b32_e32 v1, v7, v1, vcc
	v_cvt_f64_f32_e32 v[7:8], v10
	v_lshrrev_b32_e32 v2, 16, v2
	v_and_or_b32 v10, v2, s11, v1
	v_add_co_u32_e32 v3, vcc, s13, v3
	v_mul_f64 v[1:2], v[7:8], s[4:5]
	v_mov_b32_e32 v7, s12
	v_and_b32_e32 v5, 0xffff, v5
	v_addc_co_u32_e32 v4, vcc, v4, v7, vcc
	v_lshl_or_b32 v5, v10, 16, v5
	global_store_dword v[3:4], v5, off
	v_mul_f16_sdwa v6, v29, v6 dst_sel:DWORD dst_unused:UNUSED_PAD src0_sel:WORD_1 src1_sel:DWORD
	v_and_or_b32 v1, v2, s6, v1
	v_cmp_ne_u32_e32 vcc, 0, v1
	v_cndmask_b32_e64 v1, 0, 1, vcc
	v_lshrrev_b32_e32 v5, 8, v2
	v_bfe_u32 v7, v2, 20, 11
	v_and_or_b32 v1, v5, s7, v1
	v_sub_u32_e32 v8, 0x3f1, v7
	v_or_b32_e32 v5, 0x1000, v1
	v_med3_i32 v8, v8, 0, 13
	v_lshrrev_b32_e32 v10, v8, v5
	v_lshlrev_b32_e32 v8, v8, v10
	v_cmp_ne_u32_e32 vcc, v8, v5
	v_fma_f16 v6, v29, v9, -v6
	v_cndmask_b32_e64 v5, 0, 1, vcc
	v_add_u32_e32 v7, 0xfffffc10, v7
	v_cvt_f32_f16_e32 v6, v6
	v_or_b32_e32 v5, v10, v5
	v_lshl_or_b32 v8, v7, 12, v1
	v_cmp_gt_i32_e32 vcc, 1, v7
	v_cndmask_b32_e32 v5, v8, v5, vcc
	v_and_b32_e32 v8, 7, v5
	v_cmp_lt_i32_e32 vcc, 5, v8
	v_cmp_eq_u32_e64 s[0:1], 3, v8
	v_lshrrev_b32_e32 v8, 2, v5
	v_cvt_f64_f32_e32 v[5:6], v6
	s_or_b64 vcc, s[0:1], vcc
	v_addc_co_u32_e32 v8, vcc, 0, v8, vcc
	v_mul_f64 v[5:6], v[5:6], s[4:5]
	v_cmp_gt_i32_e32 vcc, 31, v7
	v_cndmask_b32_e32 v8, v0, v8, vcc
	v_cmp_ne_u32_e32 vcc, 0, v1
	v_cndmask_b32_e64 v1, 0, 1, vcc
	v_lshl_or_b32 v1, v1, 9, v0
	v_cmp_eq_u32_e32 vcc, s10, v7
	v_cndmask_b32_e32 v1, v8, v1, vcc
	v_lshrrev_b32_e32 v2, 16, v2
	v_and_or_b32 v1, v2, s11, v1
	v_and_or_b32 v2, v6, s6, v5
	v_cmp_ne_u32_e32 vcc, 0, v2
	v_cndmask_b32_e64 v2, 0, 1, vcc
	v_lshrrev_b32_e32 v5, 8, v6
	v_bfe_u32 v7, v6, 20, 11
	v_and_or_b32 v2, v5, s7, v2
	v_sub_u32_e32 v8, 0x3f1, v7
	v_or_b32_e32 v5, 0x1000, v2
	v_med3_i32 v8, v8, 0, 13
	v_lshrrev_b32_e32 v9, v8, v5
	v_lshlrev_b32_e32 v8, v8, v9
	v_cmp_ne_u32_e32 vcc, v8, v5
	v_cndmask_b32_e64 v5, 0, 1, vcc
	v_add_u32_e32 v7, 0xfffffc10, v7
	v_or_b32_e32 v5, v9, v5
	v_lshl_or_b32 v8, v7, 12, v2
	v_cmp_gt_i32_e32 vcc, 1, v7
	v_cndmask_b32_e32 v5, v8, v5, vcc
	v_and_b32_e32 v8, 7, v5
	v_cmp_lt_i32_e32 vcc, 5, v8
	v_cmp_eq_u32_e64 s[0:1], 3, v8
	v_lshrrev_b32_e32 v5, 2, v5
	s_or_b64 vcc, s[0:1], vcc
	v_addc_co_u32_e32 v5, vcc, 0, v5, vcc
	v_cmp_gt_i32_e32 vcc, 31, v7
	v_cndmask_b32_e32 v5, v0, v5, vcc
	v_cmp_ne_u32_e32 vcc, 0, v2
	v_cndmask_b32_e64 v2, 0, 1, vcc
	v_lshl_or_b32 v0, v2, 9, v0
	v_cmp_eq_u32_e32 vcc, s10, v7
	v_cndmask_b32_e32 v0, v5, v0, vcc
	v_lshrrev_b32_e32 v2, 16, v6
	v_and_or_b32 v0, v2, s11, v0
	v_and_b32_e32 v1, 0xffff, v1
	v_lshl_or_b32 v2, v0, 16, v1
	v_mov_b32_e32 v1, s2
	v_add_co_u32_e32 v0, vcc, s3, v3
	v_addc_co_u32_e32 v1, vcc, v4, v1, vcc
	global_store_dword v[0:1], v2, off
.LBB0_10:
	s_endpgm
	.section	.rodata,"a",@progbits
	.p2align	6, 0x0
	.amdhsa_kernel bluestein_single_fwd_len672_dim1_half_op_CI_CI
		.amdhsa_group_segment_fixed_size 2688
		.amdhsa_private_segment_fixed_size 0
		.amdhsa_kernarg_size 104
		.amdhsa_user_sgpr_count 6
		.amdhsa_user_sgpr_private_segment_buffer 1
		.amdhsa_user_sgpr_dispatch_ptr 0
		.amdhsa_user_sgpr_queue_ptr 0
		.amdhsa_user_sgpr_kernarg_segment_ptr 1
		.amdhsa_user_sgpr_dispatch_id 0
		.amdhsa_user_sgpr_flat_scratch_init 0
		.amdhsa_user_sgpr_private_segment_size 0
		.amdhsa_uses_dynamic_stack 0
		.amdhsa_system_sgpr_private_segment_wavefront_offset 0
		.amdhsa_system_sgpr_workgroup_id_x 1
		.amdhsa_system_sgpr_workgroup_id_y 0
		.amdhsa_system_sgpr_workgroup_id_z 0
		.amdhsa_system_sgpr_workgroup_info 0
		.amdhsa_system_vgpr_workitem_id 0
		.amdhsa_next_free_vgpr 126
		.amdhsa_next_free_sgpr 20
		.amdhsa_reserve_vcc 1
		.amdhsa_reserve_flat_scratch 0
		.amdhsa_float_round_mode_32 0
		.amdhsa_float_round_mode_16_64 0
		.amdhsa_float_denorm_mode_32 3
		.amdhsa_float_denorm_mode_16_64 3
		.amdhsa_dx10_clamp 1
		.amdhsa_ieee_mode 1
		.amdhsa_fp16_overflow 0
		.amdhsa_exception_fp_ieee_invalid_op 0
		.amdhsa_exception_fp_denorm_src 0
		.amdhsa_exception_fp_ieee_div_zero 0
		.amdhsa_exception_fp_ieee_overflow 0
		.amdhsa_exception_fp_ieee_underflow 0
		.amdhsa_exception_fp_ieee_inexact 0
		.amdhsa_exception_int_div_zero 0
	.end_amdhsa_kernel
	.text
.Lfunc_end0:
	.size	bluestein_single_fwd_len672_dim1_half_op_CI_CI, .Lfunc_end0-bluestein_single_fwd_len672_dim1_half_op_CI_CI
                                        ; -- End function
	.section	.AMDGPU.csdata,"",@progbits
; Kernel info:
; codeLenInByte = 19416
; NumSgprs: 24
; NumVgprs: 126
; ScratchSize: 0
; MemoryBound: 0
; FloatMode: 240
; IeeeMode: 1
; LDSByteSize: 2688 bytes/workgroup (compile time only)
; SGPRBlocks: 2
; VGPRBlocks: 31
; NumSGPRsForWavesPerEU: 24
; NumVGPRsForWavesPerEU: 126
; Occupancy: 2
; WaveLimiterHint : 1
; COMPUTE_PGM_RSRC2:SCRATCH_EN: 0
; COMPUTE_PGM_RSRC2:USER_SGPR: 6
; COMPUTE_PGM_RSRC2:TRAP_HANDLER: 0
; COMPUTE_PGM_RSRC2:TGID_X_EN: 1
; COMPUTE_PGM_RSRC2:TGID_Y_EN: 0
; COMPUTE_PGM_RSRC2:TGID_Z_EN: 0
; COMPUTE_PGM_RSRC2:TIDIG_COMP_CNT: 0
	.type	__hip_cuid_bd3ded4fd2d4115e,@object ; @__hip_cuid_bd3ded4fd2d4115e
	.section	.bss,"aw",@nobits
	.globl	__hip_cuid_bd3ded4fd2d4115e
__hip_cuid_bd3ded4fd2d4115e:
	.byte	0                               ; 0x0
	.size	__hip_cuid_bd3ded4fd2d4115e, 1

	.ident	"AMD clang version 19.0.0git (https://github.com/RadeonOpenCompute/llvm-project roc-6.4.0 25133 c7fe45cf4b819c5991fe208aaa96edf142730f1d)"
	.section	".note.GNU-stack","",@progbits
	.addrsig
	.addrsig_sym __hip_cuid_bd3ded4fd2d4115e
	.amdgpu_metadata
---
amdhsa.kernels:
  - .args:
      - .actual_access:  read_only
        .address_space:  global
        .offset:         0
        .size:           8
        .value_kind:     global_buffer
      - .actual_access:  read_only
        .address_space:  global
        .offset:         8
        .size:           8
        .value_kind:     global_buffer
      - .actual_access:  read_only
        .address_space:  global
        .offset:         16
        .size:           8
        .value_kind:     global_buffer
      - .actual_access:  read_only
        .address_space:  global
        .offset:         24
        .size:           8
        .value_kind:     global_buffer
      - .actual_access:  read_only
        .address_space:  global
        .offset:         32
        .size:           8
        .value_kind:     global_buffer
      - .offset:         40
        .size:           8
        .value_kind:     by_value
      - .address_space:  global
        .offset:         48
        .size:           8
        .value_kind:     global_buffer
      - .address_space:  global
        .offset:         56
        .size:           8
        .value_kind:     global_buffer
      - .address_space:  global
        .offset:         64
        .size:           8
        .value_kind:     global_buffer
      - .address_space:  global
        .offset:         72
        .size:           8
        .value_kind:     global_buffer
      - .offset:         80
        .size:           4
        .value_kind:     by_value
      - .address_space:  global
        .offset:         88
        .size:           8
        .value_kind:     global_buffer
      - .address_space:  global
        .offset:         96
        .size:           8
        .value_kind:     global_buffer
    .group_segment_fixed_size: 2688
    .kernarg_segment_align: 8
    .kernarg_segment_size: 104
    .language:       OpenCL C
    .language_version:
      - 2
      - 0
    .max_flat_workgroup_size: 56
    .name:           bluestein_single_fwd_len672_dim1_half_op_CI_CI
    .private_segment_fixed_size: 0
    .sgpr_count:     24
    .sgpr_spill_count: 0
    .symbol:         bluestein_single_fwd_len672_dim1_half_op_CI_CI.kd
    .uniform_work_group_size: 1
    .uses_dynamic_stack: false
    .vgpr_count:     126
    .vgpr_spill_count: 0
    .wavefront_size: 64
amdhsa.target:   amdgcn-amd-amdhsa--gfx906
amdhsa.version:
  - 1
  - 2
...

	.end_amdgpu_metadata
